;; amdgpu-corpus repo=ROCm/rocFFT kind=compiled arch=gfx1201 opt=O3
	.text
	.amdgcn_target "amdgcn-amd-amdhsa--gfx1201"
	.amdhsa_code_object_version 6
	.protected	bluestein_single_back_len810_dim1_sp_op_CI_CI ; -- Begin function bluestein_single_back_len810_dim1_sp_op_CI_CI
	.globl	bluestein_single_back_len810_dim1_sp_op_CI_CI
	.p2align	8
	.type	bluestein_single_back_len810_dim1_sp_op_CI_CI,@function
bluestein_single_back_len810_dim1_sp_op_CI_CI: ; @bluestein_single_back_len810_dim1_sp_op_CI_CI
; %bb.0:
	s_load_b128 s[8:11], s[0:1], 0x28
	v_mul_u32_u24_e32 v1, 0x32a, v0
	s_mov_b32 s2, exec_lo
	v_mov_b32_e32 v81, 0
	s_delay_alu instid0(VALU_DEP_2) | instskip(NEXT) | instid1(VALU_DEP_1)
	v_lshrrev_b32_e32 v1, 16, v1
	v_add_nc_u32_e32 v80, ttmp9, v1
	s_wait_kmcnt 0x0
	s_delay_alu instid0(VALU_DEP_1)
	v_cmpx_gt_u64_e64 s[8:9], v[80:81]
	s_cbranch_execz .LBB0_39
; %bb.1:
	s_clause 0x1
	s_load_b128 s[4:7], s[0:1], 0x18
	s_load_b64 s[16:17], s[0:1], 0x0
	v_mul_lo_u16 v1, 0x51, v1
	s_movk_i32 s2, 0xfe35
	s_mov_b32 s3, -1
	s_delay_alu instid0(VALU_DEP_1) | instskip(NEXT) | instid1(VALU_DEP_1)
	v_sub_nc_u16 v27, v0, v1
	v_and_b32_e32 v114, 0xffff, v27
	s_wait_kmcnt 0x0
	s_load_b128 s[12:15], s[4:5], 0x0
	s_wait_kmcnt 0x0
	v_mad_co_u64_u32 v[0:1], null, s14, v80, 0
	v_mad_co_u64_u32 v[2:3], null, s12, v114, 0
	s_mul_u64 s[4:5], s[12:13], 0x10e
	s_mul_u64 s[2:3], s[12:13], s[2:3]
	s_delay_alu instid0(SALU_CYCLE_1) | instskip(NEXT) | instid1(VALU_DEP_1)
	s_lshl_b64 s[2:3], s[2:3], 3
	v_mad_co_u64_u32 v[4:5], null, s15, v80, v[1:2]
	s_delay_alu instid0(VALU_DEP_1) | instskip(NEXT) | instid1(VALU_DEP_3)
	v_mov_b32_e32 v1, v4
	v_mad_co_u64_u32 v[5:6], null, s13, v114, v[3:4]
	v_lshlrev_b32_e32 v113, 3, v114
	s_clause 0x2
	global_load_b64 v[93:94], v113, s[16:17]
	global_load_b64 v[95:96], v113, s[16:17] offset:648
	global_load_b64 v[83:84], v113, s[16:17] offset:2808
	v_mov_b32_e32 v3, v5
	v_lshlrev_b64_e32 v[0:1], 3, v[0:1]
	s_clause 0x3
	global_load_b64 v[97:98], v113, s[16:17] offset:4320
	global_load_b64 v[87:88], v113, s[16:17] offset:4968
	;; [unrolled: 1-line block ×4, first 2 shown]
	v_lshlrev_b64_e32 v[2:3], 3, v[2:3]
	v_add_co_u32 v0, vcc_lo, s10, v0
	v_add_co_ci_u32_e32 v1, vcc_lo, s11, v1, vcc_lo
	s_lshl_b64 s[10:11], s[4:5], 3
	s_delay_alu instid0(VALU_DEP_2) | instskip(SKIP_1) | instid1(VALU_DEP_2)
	v_add_co_u32 v0, vcc_lo, v0, v2
	s_wait_alu 0xfffd
	v_add_co_ci_u32_e32 v1, vcc_lo, v1, v3, vcc_lo
	s_wait_alu 0xfffe
	s_delay_alu instid0(VALU_DEP_2) | instskip(SKIP_1) | instid1(VALU_DEP_2)
	v_add_co_u32 v2, vcc_lo, v0, s10
	s_wait_alu 0xfffd
	v_add_co_ci_u32_e32 v3, vcc_lo, s11, v1, vcc_lo
	s_delay_alu instid0(VALU_DEP_2) | instskip(SKIP_1) | instid1(VALU_DEP_2)
	v_add_co_u32 v4, vcc_lo, v2, s10
	s_wait_alu 0xfffd
	v_add_co_ci_u32_e32 v5, vcc_lo, s11, v3, vcc_lo
	;; [unrolled: 4-line block ×3, first 2 shown]
	s_clause 0x2
	global_load_b64 v[9:10], v[0:1], off
	global_load_b64 v[2:3], v[2:3], off
	global_load_b64 v[4:5], v[4:5], off
	v_add_co_u32 v0, vcc_lo, v6, s10
	s_wait_alu 0xfffd
	v_add_co_ci_u32_e32 v1, vcc_lo, s11, v7, vcc_lo
	global_load_b64 v[6:7], v[6:7], off
	v_add_co_u32 v11, vcc_lo, v0, s10
	global_load_b64 v[13:14], v[0:1], off
	s_wait_alu 0xfffd
	v_add_co_ci_u32_e32 v12, vcc_lo, s11, v1, vcc_lo
	v_add_co_u32 v0, vcc_lo, v11, s2
	s_wait_alu 0xfffd
	s_delay_alu instid0(VALU_DEP_2) | instskip(NEXT) | instid1(VALU_DEP_2)
	v_add_co_ci_u32_e32 v1, vcc_lo, s3, v12, vcc_lo
	v_add_co_u32 v15, vcc_lo, v0, s10
	global_load_b64 v[11:12], v[11:12], off
	s_wait_alu 0xfffd
	v_add_co_ci_u32_e32 v16, vcc_lo, s11, v1, vcc_lo
	global_load_b64 v[17:18], v[0:1], off
	v_add_co_u32 v0, vcc_lo, v15, s10
	s_wait_alu 0xfffd
	v_add_co_ci_u32_e32 v1, vcc_lo, s11, v16, vcc_lo
	v_cmp_gt_u16_e32 vcc_lo, 27, v27
	s_wait_loadcnt 0x5
	v_dual_mul_f32 v22, v9, v94 :: v_dual_mul_f32 v23, v3, v100
	v_mul_f32_e32 v24, v2, v100
	global_load_b64 v[89:90], v113, s[16:17] offset:3456
	global_load_b64 v[15:16], v[15:16], off
	global_load_b64 v[91:92], v113, s[16:17] offset:5616
	global_load_b64 v[19:20], v[0:1], off
	v_mul_f32_e32 v21, v10, v94
	s_load_b64 s[8:9], s[0:1], 0x38
	s_load_b128 s[4:7], s[6:7], 0x0
	s_wait_loadcnt 0x7
	v_dual_fmac_f32 v23, v2, v99 :: v_dual_mul_f32 v2, v7, v96
	v_mul_f32_e32 v25, v5, v98
	v_dual_mul_f32 v26, v4, v98 :: v_dual_fmac_f32 v21, v9, v93
	v_fma_f32 v24, v3, v99, -v24
	s_delay_alu instid0(VALU_DEP_3)
	v_dual_fmac_f32 v2, v6, v95 :: v_dual_fmac_f32 v25, v4, v97
	s_wait_loadcnt 0x6
	v_mul_f32_e32 v4, v14, v84
	v_mul_f32_e32 v3, v6, v96
	v_fma_f32 v26, v5, v97, -v26
	v_mul_f32_e32 v5, v13, v84
	v_fma_f32 v22, v10, v93, -v22
	v_fmac_f32_e32 v4, v13, v83
	s_wait_loadcnt 0x5
	v_mul_f32_e32 v6, v12, v88
	v_fma_f32 v3, v7, v95, -v3
	v_add_co_u32 v81, s12, s16, v113
	s_wait_loadcnt 0x4
	v_dual_mul_f32 v10, v18, v86 :: v_dual_mul_f32 v7, v11, v88
	v_fma_f32 v5, v14, v83, -v5
	v_dual_fmac_f32 v6, v11, v87 :: v_dual_mul_f32 v9, v17, v86
	s_delay_alu instid0(VALU_DEP_3) | instskip(NEXT) | instid1(VALU_DEP_4)
	v_fmac_f32_e32 v10, v17, v85
	v_fma_f32 v7, v12, v87, -v7
	s_wait_alu 0xf1ff
	v_add_co_ci_u32_e64 v82, null, s17, 0, s12
	v_add_nc_u32_e32 v8, 0x800, v113
	v_fma_f32 v11, v18, v85, -v9
	ds_store_b64 v113, v[23:24] offset:2160
	ds_store_b64 v113, v[25:26] offset:4320
	v_add_nc_u32_e32 v9, 0x1000, v113
	s_wait_loadcnt 0x2
	v_mul_f32_e32 v13, v15, v90
	s_wait_loadcnt 0x0
	v_dual_mul_f32 v12, v16, v90 :: v_dual_mul_f32 v17, v19, v92
	v_mul_f32_e32 v14, v20, v92
	s_delay_alu instid0(VALU_DEP_3) | instskip(NEXT) | instid1(VALU_DEP_3)
	v_fma_f32 v13, v16, v89, -v13
	v_fmac_f32_e32 v12, v15, v89
	s_delay_alu instid0(VALU_DEP_4) | instskip(NEXT) | instid1(VALU_DEP_4)
	v_fma_f32 v15, v20, v91, -v17
	v_fmac_f32_e32 v14, v19, v91
	ds_store_2addr_b64 v113, v[21:22], v[2:3] offset1:81
	ds_store_b64 v113, v[10:11] offset:1296
	ds_store_2addr_b64 v8, v[4:5], v[12:13] offset0:95 offset1:176
	ds_store_2addr_b64 v9, v[6:7], v[14:15] offset0:109 offset1:190
	s_and_saveexec_b32 s12, vcc_lo
	s_cbranch_execz .LBB0_3
; %bb.2:
	v_add_co_u32 v0, s2, v0, s2
	s_wait_alu 0xf1ff
	v_add_co_ci_u32_e64 v1, s2, s3, v1, s2
	global_load_b64 v[4:5], v[81:82], off offset:1944
	global_load_b64 v[2:3], v[0:1], off
	v_add_co_u32 v0, s2, v0, s10
	s_wait_alu 0xf1ff
	v_add_co_ci_u32_e64 v1, s2, s11, v1, s2
	s_delay_alu instid0(VALU_DEP_2) | instskip(SKIP_1) | instid1(VALU_DEP_2)
	v_add_co_u32 v6, s2, v0, s10
	s_wait_alu 0xf1ff
	v_add_co_ci_u32_e64 v7, s2, s11, v1, s2
	global_load_b64 v[0:1], v[0:1], off
	s_clause 0x1
	global_load_b64 v[10:11], v[81:82], off offset:4104
	global_load_b64 v[12:13], v[81:82], off offset:6264
	global_load_b64 v[6:7], v[6:7], off
	s_wait_loadcnt 0x4
	v_mul_f32_e32 v14, v3, v5
	v_mul_f32_e32 v15, v2, v5
	s_delay_alu instid0(VALU_DEP_2)
	v_fmac_f32_e32 v14, v2, v4
	s_wait_loadcnt 0x2
	v_mul_f32_e32 v2, v1, v11
	v_mul_f32_e32 v11, v0, v11
	s_wait_loadcnt 0x0
	v_mul_f32_e32 v5, v7, v13
	v_mul_f32_e32 v13, v6, v13
	v_fma_f32 v15, v3, v4, -v15
	v_fmac_f32_e32 v2, v0, v10
	v_fma_f32 v3, v1, v10, -v11
	v_fmac_f32_e32 v5, v6, v12
	v_fma_f32 v6, v7, v12, -v13
	ds_store_b64 v113, v[14:15] offset:1944
	ds_store_b64 v113, v[2:3] offset:4104
	;; [unrolled: 1-line block ×3, first 2 shown]
.LBB0_3:
	s_wait_alu 0xfffe
	s_or_b32 exec_lo, exec_lo, s12
	v_add_nc_u32_e32 v0, 0x400, v113
	global_wb scope:SCOPE_SE
	s_wait_dscnt 0x0
	s_wait_kmcnt 0x0
	s_barrier_signal -1
	s_barrier_wait -1
	global_inv scope:SCOPE_SE
	ds_load_2addr_b64 v[4:7], v113 offset1:81
	ds_load_2addr_b64 v[0:3], v0 offset0:34 offset1:142
	ds_load_2addr_b64 v[12:15], v9 offset0:28 offset1:109
	;; [unrolled: 1-line block ×3, first 2 shown]
	ds_load_b64 v[22:23], v113 offset:5616
                                        ; implicit-def: $vgpr16
                                        ; implicit-def: $vgpr18
                                        ; implicit-def: $vgpr20
	s_and_saveexec_b32 s2, vcc_lo
	s_cbranch_execz .LBB0_5
; %bb.4:
	ds_load_b64 v[16:17], v113 offset:1944
	ds_load_b64 v[18:19], v113 offset:4104
	;; [unrolled: 1-line block ×3, first 2 shown]
.LBB0_5:
	s_wait_alu 0xfffe
	s_or_b32 exec_lo, exec_lo, s2
	s_load_b64 s[2:3], s[0:1], 0x8
	v_add_co_u32 v130, s0, 0x51, v114
	s_wait_dscnt 0x2
	v_add_f32_e32 v24, v2, v12
	s_wait_alu 0xf1ff
	v_add_co_ci_u32_e64 v70, null, 0, 0, s0
	v_add_co_u32 v129, s0, 0xa2, v114
	s_wait_alu 0xf1ff
	v_add_co_ci_u32_e64 v25, null, 0, 0, s0
	v_add_f32_e32 v25, v4, v2
	v_fma_f32 v4, -0.5, v24, v4
	v_dual_sub_f32 v27, v3, v13 :: v_dual_sub_f32 v2, v2, v12
	v_add_co_u32 v127, s0, 0xf3, v114
	s_delay_alu instid0(VALU_DEP_4) | instskip(NEXT) | instid1(VALU_DEP_3)
	v_dual_add_f32 v24, v25, v12 :: v_dual_add_f32 v25, v3, v13
	v_dual_fmamk_f32 v26, v27, 0x3f5db3d7, v4 :: v_dual_add_f32 v3, v5, v3
	s_wait_dscnt 0x1
	v_dual_fmac_f32 v4, 0xbf5db3d7, v27 :: v_dual_add_f32 v27, v8, v14
	s_delay_alu instid0(VALU_DEP_3)
	v_fma_f32 v5, -0.5, v25, v5
	s_wait_dscnt 0x0
	v_add_f32_e32 v28, v11, v23
	v_add_f32_e32 v25, v3, v13
	v_sub_f32_e32 v13, v9, v15
	v_add_f32_e32 v3, v6, v8
	v_fma_f32 v6, -0.5, v27, v6
	v_dual_fmamk_f32 v27, v2, 0xbf5db3d7, v5 :: v_dual_sub_f32 v8, v8, v14
	v_fmac_f32_e32 v5, 0x3f5db3d7, v2
	s_wait_alu 0xf1ff
	v_add_co_ci_u32_e64 v128, null, 0, 0, s0
	v_fmamk_f32 v12, v13, 0x3f5db3d7, v6
	v_fmac_f32_e32 v6, 0xbf5db3d7, v13
	v_dual_add_f32 v2, v3, v14 :: v_dual_add_f32 v3, v9, v15
	v_add_f32_e32 v9, v7, v9
	v_mul_u32_u24_e32 v117, 3, v127
	global_wb scope:SCOPE_SE
	s_wait_kmcnt 0x0
	s_barrier_signal -1
	v_fmac_f32_e32 v7, -0.5, v3
	v_add_f32_e32 v3, v9, v15
	v_add_f32_e32 v9, v0, v10
	v_sub_f32_e32 v15, v11, v23
	v_add_f32_e32 v13, v10, v22
	v_sub_f32_e32 v10, v10, v22
	s_barrier_wait -1
	global_inv scope:SCOPE_SE
	v_fma_f32 v0, -0.5, v13, v0
	v_fmamk_f32 v13, v8, 0xbf5db3d7, v7
	v_dual_fmac_f32 v7, 0x3f5db3d7, v8 :: v_dual_add_f32 v8, v9, v22
	v_add_f32_e32 v22, v19, v21
	s_delay_alu instid0(VALU_DEP_4) | instskip(SKIP_1) | instid1(VALU_DEP_3)
	v_fmamk_f32 v14, v15, 0x3f5db3d7, v0
	v_fmac_f32_e32 v0, 0xbf5db3d7, v15
	v_fma_f32 v49, -0.5, v22, v17
	v_sub_f32_e32 v22, v18, v20
	s_delay_alu instid0(VALU_DEP_1) | instskip(SKIP_3) | instid1(VALU_DEP_2)
	v_fmamk_f32 v51, v22, 0xbf5db3d7, v49
	v_fmac_f32_e32 v49, 0x3f5db3d7, v22
	v_mul_u32_u24_e32 v22, 3, v129
	v_add_f32_e32 v9, v1, v11
	v_dual_add_f32 v11, v18, v20 :: v_dual_lshlrev_b32 v116, 3, v22
	s_delay_alu instid0(VALU_DEP_2) | instskip(NEXT) | instid1(VALU_DEP_2)
	v_add_f32_e32 v9, v9, v23
	v_fma_f32 v48, -0.5, v11, v16
	v_sub_f32_e32 v11, v19, v21
	s_delay_alu instid0(VALU_DEP_1) | instskip(SKIP_2) | instid1(VALU_DEP_1)
	v_fmamk_f32 v50, v11, 0x3f5db3d7, v48
	v_fmac_f32_e32 v48, 0xbf5db3d7, v11
	v_mul_u32_u24_e32 v11, 3, v130
	v_dual_fmac_f32 v1, -0.5, v28 :: v_dual_lshlrev_b32 v118, 3, v11
	s_delay_alu instid0(VALU_DEP_1) | instskip(SKIP_2) | instid1(VALU_DEP_1)
	v_fmamk_f32 v15, v10, 0xbf5db3d7, v1
	v_fmac_f32_e32 v1, 0x3f5db3d7, v10
	v_mul_lo_u16 v10, v114, 3
	v_and_b32_e32 v10, 0xffff, v10
	s_delay_alu instid0(VALU_DEP_1)
	v_lshlrev_b32_e32 v119, 3, v10
	ds_store_2addr_b64 v119, v[24:25], v[26:27] offset1:1
	ds_store_b64 v119, v[4:5] offset:16
	ds_store_2addr_b64 v118, v[2:3], v[12:13] offset1:1
	ds_store_b64 v118, v[6:7] offset:16
	;; [unrolled: 2-line block ×3, first 2 shown]
	s_and_saveexec_b32 s0, vcc_lo
	s_cbranch_execz .LBB0_7
; %bb.6:
	v_dual_add_f32 v0, v17, v19 :: v_dual_lshlrev_b32 v3, 3, v117
	v_add_f32_e32 v2, v16, v18
	s_delay_alu instid0(VALU_DEP_1)
	v_dual_add_f32 v1, v0, v21 :: v_dual_add_f32 v0, v2, v20
	ds_store_2addr_b64 v3, v[0:1], v[50:51] offset1:1
	ds_store_b64 v3, v[48:49] offset:16
.LBB0_7:
	s_wait_alu 0xfffe
	s_or_b32 exec_lo, exec_lo, s0
	v_and_b32_e32 v16, 0xff, v114
	global_wb scope:SCOPE_SE
	s_wait_dscnt 0x0
	s_barrier_signal -1
	s_barrier_wait -1
	global_inv scope:SCOPE_SE
	v_mul_lo_u16 v0, 0xab, v16
	s_delay_alu instid0(VALU_DEP_1) | instskip(NEXT) | instid1(VALU_DEP_1)
	v_lshrrev_b16 v25, 9, v0
	v_mul_lo_u16 v0, v25, 3
	s_delay_alu instid0(VALU_DEP_1) | instskip(NEXT) | instid1(VALU_DEP_1)
	v_sub_nc_u16 v0, v114, v0
	v_and_b32_e32 v37, 0xff, v0
	s_delay_alu instid0(VALU_DEP_1)
	v_mad_co_u64_u32 v[17:18], null, 0x48, v37, s[2:3]
	s_clause 0x4
	global_load_b128 v[12:15], v[17:18], off
	global_load_b128 v[8:11], v[17:18], off offset:16
	global_load_b128 v[4:7], v[17:18], off offset:32
	;; [unrolled: 1-line block ×3, first 2 shown]
	global_load_b64 v[101:102], v[17:18], off offset:64
	ds_load_2addr_b64 v[21:24], v113 offset0:162 offset1:243
	v_add_nc_u32_e32 v44, 0x800, v113
	v_and_b32_e32 v33, 0xffff, v25
	v_add_nc_u32_e32 v29, 0xc00, v113
	ds_load_2addr_b64 v[17:20], v113 offset1:81
	s_wait_loadcnt_dscnt 0x401
	v_mul_f32_e32 v42, v21, v15
	v_mul_f32_e32 v39, v22, v15
	ds_load_2addr_b64 v[25:28], v44 offset0:68 offset1:149
	v_add_nc_u32_e32 v40, 0x1000, v113
	ds_load_2addr_b64 v[29:32], v29 offset0:102 offset1:183
	v_dual_fmac_f32 v42, v22, v14 :: v_dual_add_nc_u32 v41, 0x400, v113
	s_wait_loadcnt_dscnt 0x301
	v_mul_f32_e32 v46, v26, v11
	v_mul_u32_u24_e32 v38, 30, v33
	s_wait_loadcnt_dscnt 0x200
	v_mul_f32_e32 v54, v30, v7
	v_mul_f32_e32 v47, v25, v11
	ds_load_2addr_b64 v[33:36], v40 offset0:136 offset1:217
	v_mul_f32_e32 v43, v24, v9
	v_add_lshl_u32 v115, v38, v37, 3
	v_mul_f32_e32 v37, v20, v13
	v_mul_f32_e32 v38, v19, v13
	v_dual_mul_f32 v52, v28, v5 :: v_dual_mul_f32 v55, v29, v7
	v_mul_f32_e32 v45, v23, v9
	s_delay_alu instid0(VALU_DEP_3)
	v_dual_mul_f32 v53, v27, v5 :: v_dual_fmac_f32 v38, v20, v12
	s_wait_loadcnt 0x1
	v_mul_f32_e32 v56, v32, v1
	v_mul_f32_e32 v57, v31, v1
	v_fma_f32 v37, v19, v12, -v37
	v_fma_f32 v19, v21, v14, -v39
	;; [unrolled: 1-line block ×3, first 2 shown]
	v_fmac_f32_e32 v53, v28, v4
	v_fmac_f32_e32 v57, v32, v0
	v_fma_f32 v22, v27, v4, -v52
	global_wb scope:SCOPE_SE
	s_wait_loadcnt_dscnt 0x0
	s_barrier_signal -1
	v_mul_f32_e32 v58, v34, v3
	v_dual_mul_f32 v59, v33, v3 :: v_dual_mul_f32 v60, v36, v102
	v_fma_f32 v20, v23, v8, -v43
	v_fma_f32 v23, v29, v6, -v54
	v_mul_f32_e32 v61, v35, v102
	v_fmac_f32_e32 v55, v30, v6
	v_fma_f32 v25, v33, v2, -v58
	v_dual_add_f32 v58, v37, v20 :: v_dual_fmac_f32 v47, v26, v10
	v_fma_f32 v26, v35, v101, -v60
	v_add_f32_e32 v28, v21, v23
	s_delay_alu instid0(VALU_DEP_4) | instskip(NEXT) | instid1(VALU_DEP_4)
	v_dual_sub_f32 v32, v25, v23 :: v_dual_fmac_f32 v45, v24, v8
	v_sub_f32_e32 v30, v47, v55
	v_fma_f32 v24, v31, v0, -v56
	v_dual_fmac_f32 v61, v36, v101 :: v_dual_sub_f32 v46, v42, v47
	v_fmac_f32_e32 v59, v34, v2
	v_add_f32_e32 v27, v17, v19
	s_delay_alu instid0(VALU_DEP_4)
	v_dual_add_f32 v33, v19, v25 :: v_dual_add_f32 v60, v22, v24
	v_dual_sub_f32 v34, v21, v19 :: v_dual_sub_f32 v35, v23, v25
	v_add_f32_e32 v66, v20, v26
	v_dual_add_f32 v36, v18, v42 :: v_dual_add_f32 v39, v47, v55
	v_sub_f32_e32 v68, v24, v26
	v_dual_sub_f32 v62, v45, v61 :: v_dual_sub_f32 v29, v42, v59
	v_dual_sub_f32 v64, v20, v22 :: v_dual_sub_f32 v31, v19, v21
	v_add_f32_e32 v54, v42, v59
	v_dual_sub_f32 v52, v59, v55 :: v_dual_sub_f32 v63, v53, v57
	v_sub_f32_e32 v42, v47, v42
	v_dual_sub_f32 v56, v55, v59 :: v_dual_sub_f32 v65, v26, v24
	v_add_f32_e32 v69, v38, v45
	v_add_f32_e32 v71, v53, v57
	v_sub_f32_e32 v19, v19, v25
	v_dual_sub_f32 v43, v21, v23 :: v_dual_sub_f32 v72, v22, v24
	v_dual_sub_f32 v67, v22, v20 :: v_dual_sub_f32 v74, v61, v57
	v_sub_f32_e32 v20, v20, v26
	v_sub_f32_e32 v76, v57, v61
	v_fma_f32 v77, -0.5, v28, v17
	v_add_f32_e32 v21, v27, v21
	v_add_f32_e32 v27, v31, v32
	v_fma_f32 v32, -0.5, v33, v17
	v_add_f32_e32 v17, v34, v35
	v_add_f32_e32 v28, v36, v47
	;; [unrolled: 1-line block ×3, first 2 shown]
	v_fma_f32 v35, -0.5, v39, v18
	v_add_f32_e32 v31, v46, v52
	v_fma_f32 v34, -0.5, v54, v18
	v_add_f32_e32 v18, v42, v56
	v_add_f32_e32 v42, v69, v53
	v_fma_f32 v46, -0.5, v71, v38
	v_dual_sub_f32 v73, v45, v53 :: v_dual_add_f32 v22, v58, v22
	v_fmamk_f32 v52, v29, 0x3f737871, v77
	v_add_f32_e32 v21, v21, v23
	s_delay_alu instid0(VALU_DEP_4)
	v_dual_fmac_f32 v77, 0xbf737871, v29 :: v_dual_fmamk_f32 v56, v20, 0xbf737871, v46
	v_dual_add_f32 v23, v28, v55 :: v_dual_add_f32 v42, v42, v57
	v_fmamk_f32 v55, v43, 0x3f737871, v34
	v_add_f32_e32 v75, v45, v61
	v_sub_f32_e32 v45, v53, v45
	v_fma_f32 v33, -0.5, v60, v37
	v_dual_fmac_f32 v37, -0.5, v66 :: v_dual_fmac_f32 v34, 0xbf737871, v43
	v_dual_add_f32 v47, v73, v74 :: v_dual_fmamk_f32 v54, v19, 0xbf737871, v35
	v_dual_add_f32 v22, v22, v24 :: v_dual_fmac_f32 v55, 0xbf167918, v19
	v_fmac_f32_e32 v56, 0xbf167918, v72
	v_dual_fmac_f32 v35, 0x3f737871, v19 :: v_dual_fmac_f32 v46, 0x3f737871, v20
	v_fmamk_f32 v28, v63, 0xbf737871, v37
	v_add_f32_e32 v23, v23, v59
	v_fmac_f32_e32 v54, 0xbf167918, v43
	v_fmac_f32_e32 v56, 0x3e9e377a, v47
	v_dual_fmac_f32 v34, 0x3f167918, v19 :: v_dual_add_f32 v19, v22, v26
	v_add_f32_e32 v22, v42, v61
	v_fmamk_f32 v53, v30, 0xbf737871, v32
	v_fmac_f32_e32 v32, 0x3f737871, v30
	v_dual_fmac_f32 v38, -0.5, v75 :: v_dual_add_f32 v45, v45, v76
	v_dual_add_f32 v39, v67, v68 :: v_dual_fmamk_f32 v24, v62, 0x3f737871, v33
	v_fmac_f32_e32 v33, 0xbf737871, v62
	v_dual_fmac_f32 v35, 0x3f167918, v43 :: v_dual_fmac_f32 v46, 0x3f167918, v72
	v_fmac_f32_e32 v28, 0x3f167918, v62
	v_fmac_f32_e32 v37, 0x3f737871, v63
	v_dual_fmac_f32 v54, 0x3e9e377a, v31 :: v_dual_fmac_f32 v55, 0x3e9e377a, v18
	v_fmamk_f32 v57, v72, 0x3f737871, v38
	v_dual_fmac_f32 v38, 0xbf737871, v72 :: v_dual_add_f32 v21, v21, v25
	v_fmac_f32_e32 v52, 0x3f167918, v30
	v_dual_fmac_f32 v77, 0xbf167918, v30 :: v_dual_fmac_f32 v32, 0xbf167918, v29
	v_fmac_f32_e32 v24, 0x3f167918, v63
	s_delay_alu instid0(VALU_DEP_4)
	v_fmac_f32_e32 v38, 0x3f167918, v20
	v_dual_fmac_f32 v35, 0x3e9e377a, v31 :: v_dual_fmac_f32 v34, 0x3e9e377a, v18
	v_dual_fmac_f32 v57, 0xbf167918, v20 :: v_dual_add_f32 v18, v23, v22
	v_dual_fmac_f32 v53, 0x3f167918, v29 :: v_dual_sub_f32 v20, v23, v22
	v_fmac_f32_e32 v37, 0xbf167918, v62
	v_fmac_f32_e32 v52, 0x3e9e377a, v27
	v_dual_fmac_f32 v77, 0x3e9e377a, v27 :: v_dual_fmac_f32 v32, 0x3e9e377a, v17
	s_delay_alu instid0(VALU_DEP_4) | instskip(NEXT) | instid1(VALU_DEP_4)
	v_dual_fmac_f32 v53, 0x3e9e377a, v17 :: v_dual_fmac_f32 v24, 0x3e9e377a, v36
	v_fmac_f32_e32 v37, 0x3e9e377a, v39
	v_fmac_f32_e32 v33, 0xbf167918, v63
	v_dual_add_f32 v17, v21, v19 :: v_dual_fmac_f32 v38, 0x3e9e377a, v45
	v_sub_f32_e32 v19, v21, v19
	s_delay_alu instid0(VALU_DEP_3) | instskip(SKIP_1) | instid1(VALU_DEP_4)
	v_dual_fmac_f32 v28, 0x3e9e377a, v39 :: v_dual_fmac_f32 v33, 0x3e9e377a, v36
	v_dual_fmac_f32 v46, 0x3e9e377a, v47 :: v_dual_mul_f32 v21, 0x3e9e377a, v37
	v_mul_f32_e32 v23, 0x3e9e377a, v38
	v_mul_f32_e32 v36, 0xbf167918, v24
	s_delay_alu instid0(VALU_DEP_3) | instskip(NEXT) | instid1(VALU_DEP_4)
	v_dual_mul_f32 v22, 0x3f4f1bbd, v33 :: v_dual_mul_f32 v25, 0x3f4f1bbd, v46
	v_fma_f32 v38, 0x3f737871, v38, -v21
	s_delay_alu instid0(VALU_DEP_4) | instskip(SKIP_1) | instid1(VALU_DEP_3)
	v_fma_f32 v37, 0xbf737871, v37, -v23
	s_barrier_wait -1
	v_fma_f32 v42, 0x3f167918, v46, -v22
	v_fma_f32 v43, 0xbf167918, v33, -v25
	s_delay_alu instid0(VALU_DEP_3) | instskip(SKIP_1) | instid1(VALU_DEP_4)
	v_dual_mul_f32 v39, 0xbf737871, v28 :: v_dual_add_f32 v26, v34, v37
	v_fmac_f32_e32 v57, 0x3e9e377a, v45
	v_dual_mul_f32 v29, 0x3f167918, v56 :: v_dual_sub_f32 v64, v77, v42
	v_add_f32_e32 v25, v32, v38
	v_dual_add_f32 v27, v77, v42 :: v_dual_sub_f32 v34, v34, v37
	s_delay_alu instid0(VALU_DEP_4) | instskip(NEXT) | instid1(VALU_DEP_4)
	v_mul_f32_e32 v30, 0x3f737871, v57
	v_fmac_f32_e32 v29, 0x3f4f1bbd, v24
	v_dual_fmac_f32 v36, 0x3f4f1bbd, v56 :: v_dual_sub_f32 v33, v32, v38
	s_delay_alu instid0(VALU_DEP_3) | instskip(NEXT) | instid1(VALU_DEP_3)
	v_dual_sub_f32 v65, v35, v43 :: v_dual_fmac_f32 v30, 0x3e9e377a, v28
	v_dual_add_f32 v21, v52, v29 :: v_dual_add_f32 v28, v35, v43
	s_delay_alu instid0(VALU_DEP_3) | instskip(NEXT) | instid1(VALU_DEP_3)
	v_dual_fmac_f32 v39, 0x3e9e377a, v57 :: v_dual_add_f32 v22, v54, v36
	v_add_f32_e32 v23, v53, v30
	v_dual_sub_f32 v31, v53, v30 :: v_dual_sub_f32 v30, v54, v36
	s_delay_alu instid0(VALU_DEP_3)
	v_sub_f32_e32 v32, v55, v39
	v_dual_add_f32 v24, v55, v39 :: v_dual_sub_f32 v29, v52, v29
	global_inv scope:SCOPE_SE
	ds_store_2addr_b64 v115, v[17:18], v[21:22] offset1:3
	ds_store_2addr_b64 v115, v[23:24], v[25:26] offset0:6 offset1:9
	ds_store_2addr_b64 v115, v[27:28], v[19:20] offset0:12 offset1:15
	;; [unrolled: 1-line block ×4, first 2 shown]
	global_wb scope:SCOPE_SE
	s_wait_dscnt 0x0
	s_barrier_signal -1
	s_barrier_wait -1
	global_inv scope:SCOPE_SE
	ds_load_2addr_b64 v[36:39], v113 offset1:81
	ds_load_2addr_b64 v[32:35], v41 offset0:34 offset1:142
	ds_load_2addr_b64 v[40:43], v40 offset0:28 offset1:109
	;; [unrolled: 1-line block ×3, first 2 shown]
	ds_load_b64 v[52:53], v113 offset:5616
	s_and_saveexec_b32 s0, vcc_lo
	s_cbranch_execz .LBB0_9
; %bb.8:
	ds_load_b64 v[64:65], v113 offset:1944
	ds_load_b64 v[50:51], v113 offset:4104
	;; [unrolled: 1-line block ×3, first 2 shown]
.LBB0_9:
	s_wait_alu 0xfffe
	s_or_b32 exec_lo, exec_lo, s0
	v_mul_lo_u16 v16, 0x89, v16
	v_and_b32_e32 v17, 0xff, v130
	s_delay_alu instid0(VALU_DEP_2) | instskip(NEXT) | instid1(VALU_DEP_2)
	v_lshrrev_b16 v54, 12, v16
	v_mul_lo_u16 v16, 0x89, v17
	s_delay_alu instid0(VALU_DEP_2) | instskip(NEXT) | instid1(VALU_DEP_2)
	v_mul_lo_u16 v17, v54, 30
	v_lshrrev_b16 v55, 12, v16
	v_and_b32_e32 v54, 0xffff, v54
	s_delay_alu instid0(VALU_DEP_3) | instskip(NEXT) | instid1(VALU_DEP_2)
	v_sub_nc_u16 v16, v114, v17
	v_mul_u32_u24_e32 v54, 0x5a, v54
	s_delay_alu instid0(VALU_DEP_2) | instskip(NEXT) | instid1(VALU_DEP_1)
	v_and_b32_e32 v57, 0xff, v16
	v_lshlrev_b32_e32 v19, 4, v57
	s_delay_alu instid0(VALU_DEP_3) | instskip(SKIP_3) | instid1(VALU_DEP_2)
	v_add_lshl_u32 v122, v54, v57, 3
	global_load_b128 v[28:31], v19, s[2:3] offset:216
	v_and_b32_e32 v71, 0xff, v129
	v_and_b32_e32 v72, 0xffff, v127
	v_mul_lo_u16 v18, 0x89, v71
	s_delay_alu instid0(VALU_DEP_1) | instskip(SKIP_2) | instid1(VALU_DEP_2)
	v_lshrrev_b16 v56, 12, v18
	v_mul_lo_u16 v18, v55, 30
	v_and_b32_e32 v55, 0xffff, v55
	v_sub_nc_u16 v18, v130, v18
	s_delay_alu instid0(VALU_DEP_2) | instskip(SKIP_1) | instid1(VALU_DEP_2)
	v_mul_u32_u24_e32 v55, 0x5a, v55
	s_wait_loadcnt_dscnt 0x2
	v_dual_mul_f32 v57, v40, v31 :: v_dual_and_b32 v58, 0xff, v18
	s_delay_alu instid0(VALU_DEP_1) | instskip(SKIP_2) | instid1(VALU_DEP_4)
	v_add_lshl_u32 v121, v55, v58, 3
	v_mul_f32_e32 v55, v34, v29
	v_mul_u32_u24_e32 v17, 0x8889, v72
	v_dual_mul_f32 v54, v35, v29 :: v_dual_fmac_f32 v57, v41, v30
	s_delay_alu instid0(VALU_DEP_3) | instskip(NEXT) | instid1(VALU_DEP_3)
	v_fmac_f32_e32 v55, v35, v28
	v_lshrrev_b32_e32 v16, 20, v17
	v_mul_lo_u16 v17, v56, 30
	s_delay_alu instid0(VALU_DEP_4) | instskip(NEXT) | instid1(VALU_DEP_3)
	v_fma_f32 v34, v34, v28, -v54
	v_mul_lo_u16 v16, v16, 30
	s_delay_alu instid0(VALU_DEP_3) | instskip(NEXT) | instid1(VALU_DEP_2)
	v_sub_nc_u16 v17, v129, v17
	v_sub_nc_u16 v59, v127, v16
	s_delay_alu instid0(VALU_DEP_2) | instskip(SKIP_1) | instid1(VALU_DEP_3)
	v_and_b32_e32 v60, 0xff, v17
	v_lshlrev_b32_e32 v16, 4, v58
	v_lshlrev_b16 v17, 4, v59
	s_delay_alu instid0(VALU_DEP_3)
	v_lshlrev_b32_e32 v18, 4, v60
	global_load_b128 v[24:27], v16, s[2:3] offset:216
	v_and_b32_e32 v123, 0xffff, v59
	global_load_b128 v[20:23], v18, s[2:3] offset:216
	v_and_b32_e32 v16, 0xffff, v17
	s_wait_loadcnt 0x1
	v_mul_f32_e32 v54, v43, v27
	s_wait_loadcnt_dscnt 0x0
	v_mul_f32_e32 v61, v53, v23
	v_add_co_u32 v16, s0, s2, v16
	s_wait_alu 0xf1ff
	v_add_co_ci_u32_e64 v17, null, s3, 0, s0
	v_mul_f32_e32 v58, v47, v21
	v_mul_f32_e32 v62, v52, v23
	global_load_b128 v[16:19], v[16:17], off offset:216
	v_and_b32_e32 v56, 0xffff, v56
	global_wb scope:SCOPE_SE
	s_wait_loadcnt 0x0
	s_barrier_signal -1
	s_barrier_wait -1
	global_inv scope:SCOPE_SE
	v_mul_u32_u24_e32 v56, 0x5a, v56
	s_delay_alu instid0(VALU_DEP_1) | instskip(SKIP_2) | instid1(VALU_DEP_2)
	v_add_lshl_u32 v120, v56, v60, 3
	v_dual_mul_f32 v56, v41, v31 :: v_dual_mul_f32 v41, v44, v25
	v_mul_f32_e32 v60, v46, v21
	v_fma_f32 v35, v40, v30, -v56
	v_mul_f32_e32 v40, v45, v25
	s_delay_alu instid0(VALU_DEP_4) | instskip(SKIP_1) | instid1(VALU_DEP_4)
	v_dual_mul_f32 v56, v42, v27 :: v_dual_fmac_f32 v41, v45, v24
	v_fma_f32 v42, v42, v26, -v54
	v_dual_fmac_f32 v60, v47, v20 :: v_dual_sub_f32 v63, v34, v35
	s_delay_alu instid0(VALU_DEP_4)
	v_fma_f32 v40, v44, v24, -v40
	v_fma_f32 v44, v52, v22, -v61
	v_fmac_f32_e32 v62, v53, v22
	v_add_f32_e32 v53, v36, v34
	v_dual_fmac_f32 v56, v43, v26 :: v_dual_add_f32 v61, v37, v55
	v_fma_f32 v43, v46, v20, -v58
	v_add_f32_e32 v54, v34, v35
	v_sub_f32_e32 v58, v55, v57
	v_add_f32_e32 v55, v55, v57
	s_delay_alu instid0(VALU_DEP_4) | instskip(NEXT) | instid1(VALU_DEP_2)
	v_sub_f32_e32 v67, v43, v44
	v_fma_f32 v37, -0.5, v55, v37
	v_dual_add_f32 v55, v32, v43 :: v_dual_add_f32 v66, v33, v60
	v_mul_f32_e32 v45, v51, v17
	v_dual_mul_f32 v46, v50, v17 :: v_dual_mul_f32 v47, v49, v19
	v_mul_f32_e32 v52, v48, v19
	s_delay_alu instid0(VALU_DEP_3) | instskip(NEXT) | instid1(VALU_DEP_3)
	v_fma_f32 v50, v50, v16, -v45
	v_fmac_f32_e32 v46, v51, v16
	s_delay_alu instid0(VALU_DEP_4)
	v_fma_f32 v51, v48, v18, -v47
	v_dual_add_f32 v45, v38, v40 :: v_dual_add_f32 v34, v53, v35
	v_add_f32_e32 v35, v61, v57
	v_sub_f32_e32 v61, v60, v62
	v_dual_fmac_f32 v52, v49, v18 :: v_dual_add_f32 v57, v43, v44
	v_add_f32_e32 v47, v40, v42
	v_add_f32_e32 v49, v39, v41
	v_fma_f32 v36, -0.5, v54, v36
	v_add_f32_e32 v53, v41, v56
	v_dual_sub_f32 v48, v41, v56 :: v_dual_fmamk_f32 v41, v63, 0xbf5db3d7, v37
	v_sub_f32_e32 v54, v40, v42
	v_dual_add_f32 v60, v60, v62 :: v_dual_add_f32 v43, v49, v56
	s_delay_alu instid0(VALU_DEP_4) | instskip(NEXT) | instid1(VALU_DEP_2)
	v_dual_fmamk_f32 v40, v58, 0x3f5db3d7, v36 :: v_dual_fmac_f32 v39, -0.5, v53
	v_dual_fmac_f32 v36, 0xbf5db3d7, v58 :: v_dual_fmac_f32 v33, -0.5, v60
	v_dual_fmac_f32 v37, 0x3f5db3d7, v63 :: v_dual_add_f32 v42, v45, v42
	v_fma_f32 v38, -0.5, v47, v38
	v_dual_add_f32 v44, v55, v44 :: v_dual_add_f32 v45, v66, v62
	v_fma_f32 v32, -0.5, v57, v32
	v_add_f32_e32 v55, v50, v51
	v_dual_add_f32 v57, v65, v46 :: v_dual_add_f32 v58, v46, v52
	v_dual_add_f32 v53, v64, v50 :: v_dual_sub_f32 v56, v46, v52
	v_sub_f32_e32 v50, v50, v51
	v_fmamk_f32 v46, v48, 0x3f5db3d7, v38
	v_dual_fmac_f32 v38, 0xbf5db3d7, v48 :: v_dual_fmamk_f32 v47, v54, 0xbf5db3d7, v39
	v_dual_fmac_f32 v39, 0x3f5db3d7, v54 :: v_dual_fmamk_f32 v48, v61, 0x3f5db3d7, v32
	v_dual_fmac_f32 v65, -0.5, v58 :: v_dual_fmac_f32 v64, -0.5, v55
	v_dual_fmac_f32 v32, 0xbf5db3d7, v61 :: v_dual_fmamk_f32 v49, v67, 0xbf5db3d7, v33
	v_dual_fmac_f32 v33, 0x3f5db3d7, v67 :: v_dual_add_f32 v106, v57, v52
	s_delay_alu instid0(VALU_DEP_3)
	v_fmamk_f32 v67, v50, 0xbf5db3d7, v65
	v_fmac_f32_e32 v65, 0x3f5db3d7, v50
	v_dual_add_f32 v105, v53, v51 :: v_dual_fmamk_f32 v66, v56, 0x3f5db3d7, v64
	v_fmac_f32_e32 v64, 0xbf5db3d7, v56
	ds_store_2addr_b64 v122, v[34:35], v[40:41] offset1:30
	ds_store_b64 v122, v[36:37] offset:480
	ds_store_2addr_b64 v121, v[42:43], v[46:47] offset1:30
	ds_store_b64 v121, v[38:39] offset:480
	ds_store_2addr_b64 v120, v[44:45], v[48:49] offset1:30
	ds_store_b64 v120, v[32:33] offset:480
	s_and_saveexec_b32 s0, vcc_lo
	s_cbranch_execz .LBB0_11
; %bb.10:
	v_lshlrev_b32_e32 v32, 3, v123
	s_delay_alu instid0(VALU_DEP_1)
	v_add_nc_u32_e32 v33, 0x1000, v32
	ds_store_2addr_b64 v33, v[105:106], v[66:67] offset0:208 offset1:238
	ds_store_b64 v32, v[64:65] offset:6240
.LBB0_11:
	s_wait_alu 0xfffe
	s_or_b32 exec_lo, exec_lo, s0
	v_add_nc_u32_e32 v32, 0x400, v113
	v_add_nc_u32_e32 v36, 0x1000, v113
	;; [unrolled: 1-line block ×3, first 2 shown]
	global_wb scope:SCOPE_SE
	s_wait_dscnt 0x0
	s_barrier_signal -1
	s_barrier_wait -1
	global_inv scope:SCOPE_SE
	ds_load_2addr_b64 v[52:55], v113 offset1:81
	ds_load_2addr_b64 v[32:35], v32 offset0:34 offset1:142
	ds_load_2addr_b64 v[60:63], v36 offset0:28 offset1:109
	;; [unrolled: 1-line block ×3, first 2 shown]
	ds_load_b64 v[68:69], v113 offset:5616
	s_and_saveexec_b32 s0, vcc_lo
	s_cbranch_execz .LBB0_13
; %bb.12:
	ds_load_b64 v[105:106], v113 offset:1944
	ds_load_b64 v[66:67], v113 offset:4104
	;; [unrolled: 1-line block ×3, first 2 shown]
.LBB0_13:
	s_wait_alu 0xfffe
	s_or_b32 exec_lo, exec_lo, s0
	v_add_co_u32 v40, s0, v114, -9
	s_wait_alu 0xf1ff
	v_add_co_ci_u32_e64 v41, null, 0, -1, s0
	v_cmp_gt_u16_e64 s0, 9, v114
	v_mul_u32_u24_e32 v42, 0x2d83, v72
	v_lshlrev_b32_e32 v75, 4, v114
	s_wait_alu 0xf1ff
	s_delay_alu instid0(VALU_DEP_3)
	v_cndmask_b32_e64 v74, v41, v70, s0
	v_mul_lo_u16 v41, 0xb7, v71
	v_cndmask_b32_e64 v73, v40, v130, s0
	v_lshrrev_b32_e32 v42, 20, v42
	global_load_b128 v[36:39], v75, s[2:3] offset:696
	v_lshrrev_b16 v70, 14, v41
	v_lshlrev_b64_e32 v[40:41], 4, v[73:74]
	s_delay_alu instid0(VALU_DEP_2) | instskip(NEXT) | instid1(VALU_DEP_2)
	v_mul_lo_u16 v43, 0x5a, v70
	v_add_co_u32 v40, s0, s2, v40
	s_wait_alu 0xf1ff
	s_delay_alu instid0(VALU_DEP_3) | instskip(NEXT) | instid1(VALU_DEP_3)
	v_add_co_ci_u32_e64 v41, s0, s3, v41, s0
	v_sub_nc_u16 v43, v129, v43
	global_load_b128 v[48:51], v[40:41], off offset:696
	v_mul_lo_u16 v40, 0x5a, v42
	v_and_b32_e32 v71, 0xff, v43
	s_delay_alu instid0(VALU_DEP_2) | instskip(NEXT) | instid1(VALU_DEP_2)
	v_sub_nc_u16 v72, v127, v40
	v_lshlrev_b32_e32 v40, 4, v71
	s_delay_alu instid0(VALU_DEP_2) | instskip(SKIP_4) | instid1(VALU_DEP_3)
	v_lshlrev_b16 v41, 4, v72
	global_load_b128 v[44:47], v40, s[2:3] offset:696
	v_and_b32_e32 v70, 0xffff, v70
	v_and_b32_e32 v126, 0xffff, v72
	;; [unrolled: 1-line block ×3, first 2 shown]
	v_mul_u32_u24_e32 v70, 0x10e, v70
	s_delay_alu instid0(VALU_DEP_2)
	v_add_co_u32 v40, s0, s2, v40
	s_wait_alu 0xf1ff
	v_add_co_ci_u32_e64 v41, null, s3, 0, s0
	v_cmp_lt_u16_e64 s0, 8, v114
	global_load_b128 v[40:43], v[40:41], off offset:696
	global_wb scope:SCOPE_SE
	s_wait_loadcnt_dscnt 0x0
	s_wait_alu 0xf1ff
	v_cndmask_b32_e64 v74, 0, 0x10e, s0
	s_barrier_signal -1
	s_barrier_wait -1
	global_inv scope:SCOPE_SE
	v_add_lshl_u32 v125, v73, v74, 3
	v_mul_f32_e32 v73, v61, v39
	v_mul_f32_e32 v74, v60, v39
	s_delay_alu instid0(VALU_DEP_1)
	v_fmac_f32_e32 v74, v61, v38
	v_add_lshl_u32 v124, v70, v71, 3
	v_mul_f32_e32 v70, v35, v37
	v_mul_f32_e32 v71, v34, v37
	v_add_co_u32 v109, s0, s2, v75
	s_wait_alu 0xf1ff
	v_add_co_ci_u32_e64 v110, null, s3, 0, s0
	v_fma_f32 v34, v34, v36, -v70
	v_fmac_f32_e32 v71, v35, v36
	v_fma_f32 v35, v60, v38, -v73
	v_mul_f32_e32 v76, v62, v51
	s_delay_alu instid0(VALU_DEP_4) | instskip(NEXT) | instid1(VALU_DEP_4)
	v_add_f32_e32 v60, v52, v34
	v_dual_sub_f32 v70, v71, v74 :: v_dual_add_f32 v73, v53, v71
	s_delay_alu instid0(VALU_DEP_4) | instskip(SKIP_2) | instid1(VALU_DEP_3)
	v_add_f32_e32 v61, v34, v35
	v_add_f32_e32 v71, v71, v74
	v_fmac_f32_e32 v76, v63, v50
	v_fma_f32 v52, -0.5, v61, v52
	v_sub_f32_e32 v75, v34, v35
	v_dual_add_f32 v34, v60, v35 :: v_dual_add_f32 v35, v73, v74
	v_mul_f32_e32 v74, v63, v51
	v_fma_f32 v53, -0.5, v71, v53
	v_mul_f32_e32 v71, v57, v49
	v_dual_mul_f32 v73, v56, v49 :: v_dual_fmamk_f32 v60, v70, 0x3f5db3d7, v52
	s_delay_alu instid0(VALU_DEP_3) | instskip(SKIP_1) | instid1(VALU_DEP_4)
	v_dual_fmac_f32 v52, 0xbf5db3d7, v70 :: v_dual_fmamk_f32 v61, v75, 0xbf5db3d7, v53
	v_mul_f32_e32 v70, v69, v47
	v_fma_f32 v56, v56, v48, -v71
	s_delay_alu instid0(VALU_DEP_4)
	v_fmac_f32_e32 v73, v57, v48
	v_fma_f32 v57, v62, v50, -v74
	v_dual_mul_f32 v62, v59, v45 :: v_dual_mul_f32 v71, v68, v47
	v_mul_f32_e32 v63, v58, v45
	v_fmac_f32_e32 v53, 0x3f5db3d7, v75
	ds_store_2addr_b64 v113, v[34:35], v[60:61] offset1:90
	ds_store_b64 v113, v[52:53] offset:1440
	v_add_f32_e32 v60, v73, v76
	v_dual_add_f32 v34, v54, v56 :: v_dual_add_f32 v35, v56, v57
	v_dual_sub_f32 v53, v73, v76 :: v_dual_add_f32 v52, v55, v73
	v_dual_sub_f32 v56, v56, v57 :: v_dual_fmac_f32 v63, v59, v44
	v_fma_f32 v58, v58, v44, -v62
	v_fma_f32 v59, v68, v46, -v70
	v_dual_fmac_f32 v71, v69, v46 :: v_dual_mul_f32 v62, v66, v41
	v_dual_mul_f32 v61, v67, v41 :: v_dual_mul_f32 v68, v65, v43
	v_dual_mul_f32 v69, v64, v43 :: v_dual_add_f32 v34, v34, v57
	v_fma_f32 v54, -0.5, v35, v54
	v_add_f32_e32 v35, v52, v76
	v_fmac_f32_e32 v55, -0.5, v60
	v_fma_f32 v60, v66, v40, -v61
	v_add_f32_e32 v66, v33, v63
	v_dual_fmac_f32 v62, v67, v40 :: v_dual_fmac_f32 v69, v65, v42
	v_fma_f32 v61, v64, v42, -v68
	v_dual_add_f32 v57, v32, v58 :: v_dual_fmamk_f32 v52, v53, 0x3f5db3d7, v54
	v_add_f32_e32 v64, v58, v59
	v_dual_sub_f32 v65, v63, v71 :: v_dual_fmac_f32 v54, 0xbf5db3d7, v53
	v_add_f32_e32 v63, v63, v71
	v_fmamk_f32 v53, v56, 0xbf5db3d7, v55
	v_dual_fmac_f32 v55, 0x3f5db3d7, v56 :: v_dual_add_f32 v56, v57, v59
	v_fma_f32 v32, -0.5, v64, v32
	v_dual_add_f32 v57, v66, v71 :: v_dual_add_f32 v64, v60, v61
	v_dual_fmac_f32 v33, -0.5, v63 :: v_dual_add_f32 v68, v106, v62
	v_dual_add_f32 v63, v105, v60 :: v_dual_sub_f32 v66, v62, v69
	v_add_f32_e32 v62, v62, v69
	v_dual_sub_f32 v67, v58, v59 :: v_dual_sub_f32 v60, v60, v61
	v_dual_fmac_f32 v105, -0.5, v64 :: v_dual_fmamk_f32 v58, v65, 0x3f5db3d7, v32
	s_delay_alu instid0(VALU_DEP_3) | instskip(NEXT) | instid1(VALU_DEP_3)
	v_fmac_f32_e32 v106, -0.5, v62
	v_dual_fmac_f32 v32, 0xbf5db3d7, v65 :: v_dual_fmamk_f32 v59, v67, 0xbf5db3d7, v33
	v_dual_fmac_f32 v33, 0x3f5db3d7, v67 :: v_dual_add_f32 v104, v68, v69
	s_delay_alu instid0(VALU_DEP_3)
	v_dual_add_f32 v103, v63, v61 :: v_dual_fmamk_f32 v108, v60, 0xbf5db3d7, v106
	v_dual_fmamk_f32 v107, v66, 0x3f5db3d7, v105 :: v_dual_fmac_f32 v106, 0x3f5db3d7, v60
	v_fmac_f32_e32 v105, 0xbf5db3d7, v66
	ds_store_2addr_b64 v125, v[34:35], v[52:53] offset1:90
	ds_store_b64 v125, v[54:55] offset:1440
	ds_store_2addr_b64 v124, v[56:57], v[58:59] offset1:90
	ds_store_b64 v124, v[32:33] offset:1440
	s_and_saveexec_b32 s0, vcc_lo
	s_cbranch_execz .LBB0_15
; %bb.14:
	v_lshlrev_b32_e32 v32, 3, v126
	s_delay_alu instid0(VALU_DEP_1)
	v_add_nc_u32_e32 v33, 0x1000, v32
	ds_store_2addr_b64 v33, v[103:104], v[107:108] offset0:28 offset1:118
	ds_store_b64 v32, v[105:106] offset:5760
.LBB0_15:
	s_wait_alu 0xfffe
	s_or_b32 exec_lo, exec_lo, s0
	v_add_nc_u32_e32 v32, 0x400, v113
	v_add_nc_u32_e32 v131, 0x1000, v113
	;; [unrolled: 1-line block ×3, first 2 shown]
	global_wb scope:SCOPE_SE
	s_wait_dscnt 0x0
	s_barrier_signal -1
	s_barrier_wait -1
	global_inv scope:SCOPE_SE
	ds_load_2addr_b64 v[64:67], v113 offset1:81
	ds_load_2addr_b64 v[68:71], v32 offset0:34 offset1:142
	ds_load_2addr_b64 v[76:79], v131 offset0:28 offset1:109
	;; [unrolled: 1-line block ×3, first 2 shown]
	ds_load_b64 v[111:112], v113 offset:5616
	s_and_saveexec_b32 s0, vcc_lo
	s_cbranch_execz .LBB0_17
; %bb.16:
	ds_load_b64 v[103:104], v113 offset:1944
	ds_load_b64 v[107:108], v113 offset:4104
	;; [unrolled: 1-line block ×3, first 2 shown]
.LBB0_17:
	s_wait_alu 0xfffe
	s_or_b32 exec_lo, exec_lo, s0
	v_lshlrev_b32_e32 v32, 4, v130
	v_lshlrev_b32_e32 v33, 4, v129
	s_clause 0x2
	global_load_b128 v[56:59], v[109:110], off offset:2136
	global_load_b128 v[60:63], v32, s[2:3] offset:2136
	global_load_b128 v[52:55], v33, s[2:3] offset:2136
	v_add_co_u32 v32, s0, 0xffffffe5, v114
	s_wait_alu 0xf1ff
	v_add_co_ci_u32_e64 v33, null, 0, -1, s0
	s_delay_alu instid0(VALU_DEP_1) | instskip(NEXT) | instid1(VALU_DEP_1)
	v_dual_cndmask_b32 v32, v32, v127 :: v_dual_cndmask_b32 v33, v33, v128
	v_lshlrev_b64_e32 v[32:33], 4, v[32:33]
	s_delay_alu instid0(VALU_DEP_1) | instskip(SKIP_1) | instid1(VALU_DEP_2)
	v_add_co_u32 v32, s0, s2, v32
	s_wait_alu 0xf1ff
	v_add_co_ci_u32_e64 v33, s0, s3, v33, s0
	global_load_b128 v[32:35], v[32:33], off offset:2136
	s_wait_loadcnt_dscnt 0x302
	v_dual_mul_f32 v109, v71, v57 :: v_dual_mul_f32 v128, v76, v59
	v_dual_mul_f32 v110, v70, v57 :: v_dual_mul_f32 v127, v77, v59
	s_wait_loadcnt_dscnt 0x100
	v_dual_mul_f32 v130, v74, v53 :: v_dual_mul_f32 v133, v112, v55
	s_delay_alu instid0(VALU_DEP_3) | instskip(NEXT) | instid1(VALU_DEP_3)
	v_fmac_f32_e32 v128, v77, v58
	v_dual_fmac_f32 v110, v71, v56 :: v_dual_mul_f32 v77, v72, v61
	v_fma_f32 v70, v70, v56, -v109
	v_fma_f32 v71, v76, v58, -v127
	v_dual_mul_f32 v76, v73, v61 :: v_dual_mul_f32 v127, v78, v63
	v_mul_f32_e32 v109, v79, v63
	v_dual_mul_f32 v134, v111, v55 :: v_dual_fmac_f32 v77, v73, v60
	v_mul_f32_e32 v129, v75, v53
	s_delay_alu instid0(VALU_DEP_4) | instskip(NEXT) | instid1(VALU_DEP_4)
	v_fma_f32 v72, v72, v60, -v76
	v_fma_f32 v76, v78, v62, -v109
	s_delay_alu instid0(VALU_DEP_4)
	v_fmac_f32_e32 v134, v112, v54
	v_fmac_f32_e32 v127, v79, v62
	v_fma_f32 v73, v74, v52, -v129
	v_dual_fmac_f32 v130, v75, v52 :: v_dual_add_f32 v75, v70, v71
	v_fma_f32 v78, v111, v54, -v133
	v_dual_add_f32 v74, v64, v70 :: v_dual_sub_f32 v79, v110, v128
	v_dual_add_f32 v109, v65, v110 :: v_dual_add_f32 v110, v110, v128
	v_sub_f32_e32 v111, v70, v71
	s_delay_alu instid0(VALU_DEP_3) | instskip(SKIP_1) | instid1(VALU_DEP_4)
	v_add_f32_e32 v70, v74, v71
	v_fma_f32 v64, -0.5, v75, v64
	v_dual_add_f32 v71, v109, v128 :: v_dual_add_f32 v128, v68, v73
	v_fma_f32 v65, -0.5, v110, v65
	v_dual_add_f32 v74, v66, v72 :: v_dual_sub_f32 v109, v77, v127
	v_dual_add_f32 v75, v72, v76 :: v_dual_add_f32 v110, v67, v77
	v_dual_add_f32 v77, v77, v127 :: v_dual_sub_f32 v112, v72, v76
	v_dual_add_f32 v129, v73, v78 :: v_dual_fmamk_f32 v72, v79, 0x3f5db3d7, v64
	v_dual_sub_f32 v133, v130, v134 :: v_dual_fmac_f32 v64, 0xbf5db3d7, v79
	v_dual_add_f32 v135, v69, v130 :: v_dual_add_f32 v74, v74, v76
	v_add_f32_e32 v130, v130, v134
	v_dual_sub_f32 v136, v73, v78 :: v_dual_fmamk_f32 v73, v111, 0xbf5db3d7, v65
	v_dual_fmac_f32 v65, 0x3f5db3d7, v111 :: v_dual_add_f32 v76, v128, v78
	v_fma_f32 v66, -0.5, v75, v66
	s_wait_loadcnt 0x0
	v_dual_add_f32 v75, v110, v127 :: v_dual_mul_f32 v110, v108, v33
	v_dual_fmac_f32 v67, -0.5, v77 :: v_dual_mul_f32 v128, v105, v35
	v_fma_f32 v68, -0.5, v129, v68
	v_mul_f32_e32 v111, v107, v33
	v_mul_f32_e32 v127, v106, v35
	v_dual_add_f32 v77, v135, v134 :: v_dual_fmamk_f32 v78, v109, 0x3f5db3d7, v66
	v_dual_fmac_f32 v69, -0.5, v130 :: v_dual_fmac_f32 v66, 0xbf5db3d7, v109
	v_fma_f32 v107, v107, v32, -v110
	v_dual_fmac_f32 v128, v106, v34 :: v_dual_fmac_f32 v111, v108, v32
	v_fmamk_f32 v109, v133, 0x3f5db3d7, v68
	v_fmac_f32_e32 v68, 0xbf5db3d7, v133
	v_fma_f32 v105, v105, v34, -v127
	v_fmamk_f32 v79, v112, 0xbf5db3d7, v67
	v_dual_fmac_f32 v67, 0x3f5db3d7, v112 :: v_dual_add_f32 v108, v103, v107
	v_add_f32_e32 v112, v111, v128
	s_delay_alu instid0(VALU_DEP_4) | instskip(SKIP_1) | instid1(VALU_DEP_3)
	v_add_f32_e32 v106, v107, v105
	v_dual_fmamk_f32 v110, v136, 0xbf5db3d7, v69 :: v_dual_sub_f32 v127, v111, v128
	v_dual_add_f32 v111, v104, v111 :: v_dual_fmac_f32 v104, -0.5, v112
	s_delay_alu instid0(VALU_DEP_3) | instskip(SKIP_2) | instid1(VALU_DEP_4)
	v_fmac_f32_e32 v103, -0.5, v106
	v_sub_f32_e32 v129, v107, v105
	v_fmac_f32_e32 v69, 0x3f5db3d7, v136
	v_dual_add_f32 v105, v108, v105 :: v_dual_add_f32 v106, v111, v128
	s_delay_alu instid0(VALU_DEP_4) | instskip(NEXT) | instid1(VALU_DEP_4)
	v_fmamk_f32 v107, v127, 0x3f5db3d7, v103
	v_dual_fmac_f32 v103, 0xbf5db3d7, v127 :: v_dual_fmamk_f32 v108, v129, 0xbf5db3d7, v104
	v_fmac_f32_e32 v104, 0x3f5db3d7, v129
	ds_store_b64 v113, v[72:73] offset:2160
	ds_store_b64 v113, v[64:65] offset:4320
	ds_store_2addr_b64 v113, v[70:71], v[74:75] offset1:81
	ds_store_b64 v113, v[76:77] offset:1296
	ds_store_2addr_b64 v132, v[78:79], v[109:110] offset0:95 offset1:176
	ds_store_2addr_b64 v131, v[66:67], v[68:69] offset0:109 offset1:190
	s_and_saveexec_b32 s0, vcc_lo
	s_cbranch_execz .LBB0_19
; %bb.18:
	ds_store_b64 v113, v[105:106] offset:1944
	ds_store_b64 v113, v[107:108] offset:4104
	;; [unrolled: 1-line block ×3, first 2 shown]
.LBB0_19:
	s_wait_alu 0xfffe
	s_or_b32 exec_lo, exec_lo, s0
	global_wb scope:SCOPE_SE
	s_wait_dscnt 0x0
	s_barrier_signal -1
	s_barrier_wait -1
	global_inv scope:SCOPE_SE
	global_load_b64 v[68:69], v[81:82], off offset:6480
	s_add_nc_u64 s[0:1], s[16:17], 0x1950
	s_clause 0x7
	global_load_b64 v[78:79], v113, s[0:1] offset:648
	global_load_b64 v[127:128], v113, s[0:1] offset:5616
	;; [unrolled: 1-line block ×8, first 2 shown]
	ds_load_2addr_b64 v[64:67], v113 offset1:81
	ds_load_b64 v[141:142], v113 offset:5616
	v_add_nc_u32_e32 v72, 0x800, v113
	s_wait_loadcnt_dscnt 0x701
	v_dual_mul_f32 v144, v66, v79 :: v_dual_add_nc_u32 v73, 0x1000, v113
	s_wait_loadcnt_dscnt 0x600
	v_mul_f32_e32 v145, v142, v128
	v_mul_f32_e32 v71, v65, v69
	;; [unrolled: 1-line block ×3, first 2 shown]
	s_delay_alu instid0(VALU_DEP_2) | instskip(NEXT) | instid1(VALU_DEP_2)
	v_fma_f32 v69, v64, v68, -v71
	v_fmac_f32_e32 v70, v65, v68
	v_dual_mul_f32 v65, v67, v79 :: v_dual_add_nc_u32 v64, 0x400, v113
	v_dual_mul_f32 v79, v141, v128 :: v_dual_add_nc_u32 v146, 0xc00, v113
	ds_store_b64 v113, v[69:70]
	ds_load_2addr_b64 v[68:71], v64 offset0:34 offset1:142
	ds_load_2addr_b64 v[74:77], v73 offset0:28 offset1:109
	;; [unrolled: 1-line block ×3, first 2 shown]
	v_fma_f32 v143, v66, v78, -v65
	v_dual_fmac_f32 v79, v142, v127 :: v_dual_fmac_f32 v144, v67, v78
	v_fma_f32 v78, v141, v127, -v145
	s_wait_loadcnt_dscnt 0x401
	v_dual_mul_f32 v65, v71, v130 :: v_dual_mul_f32 v128, v74, v132
	v_dual_mul_f32 v66, v70, v130 :: v_dual_mul_f32 v67, v75, v132
	s_wait_loadcnt_dscnt 0x200
	v_dual_mul_f32 v141, v110, v134 :: v_dual_mul_f32 v142, v77, v136
	v_mul_f32_e32 v130, v109, v134
	v_mul_f32_e32 v132, v76, v136
	s_wait_loadcnt 0x1
	v_mul_f32_e32 v136, v69, v138
	v_mul_f32_e32 v134, v68, v138
	s_wait_loadcnt 0x0
	v_mul_f32_e32 v145, v112, v140
	v_mul_f32_e32 v138, v111, v140
	v_fma_f32 v65, v70, v129, -v65
	v_fmac_f32_e32 v66, v71, v129
	v_fma_f32 v129, v109, v133, -v141
	v_fmac_f32_e32 v130, v110, v133
	;; [unrolled: 2-line block ×6, first 2 shown]
	ds_store_2addr_b64 v72, v[65:66], v[129:130] offset0:14 offset1:95
	ds_store_2addr_b64 v113, v[143:144], v[133:134] offset0:81 offset1:162
	;; [unrolled: 1-line block ×4, first 2 shown]
	s_and_saveexec_b32 s2, vcc_lo
	s_cbranch_execz .LBB0_21
; %bb.20:
	s_wait_alu 0xfffe
	v_add_co_u32 v65, s0, s0, v113
	s_wait_alu 0xf1ff
	v_add_co_ci_u32_e64 v66, null, s1, 0, s0
	s_clause 0x2
	global_load_b64 v[67:68], v[65:66], off offset:1944
	global_load_b64 v[69:70], v[65:66], off offset:4104
	;; [unrolled: 1-line block ×3, first 2 shown]
	ds_load_b64 v[74:75], v113 offset:1944
	ds_load_b64 v[76:77], v113 offset:4104
	;; [unrolled: 1-line block ×3, first 2 shown]
	s_wait_loadcnt_dscnt 0x202
	v_mul_f32_e32 v71, v74, v68
	s_wait_loadcnt_dscnt 0x101
	v_dual_mul_f32 v109, v75, v68 :: v_dual_mul_f32 v68, v76, v70
	s_wait_loadcnt_dscnt 0x0
	v_mul_f32_e32 v112, v79, v66
	v_dual_mul_f32 v110, v78, v66 :: v_dual_fmac_f32 v71, v75, v67
	v_mul_f32_e32 v111, v77, v70
	v_fma_f32 v70, v74, v67, -v109
	v_fmac_f32_e32 v68, v77, v69
	s_delay_alu instid0(VALU_DEP_4)
	v_fmac_f32_e32 v110, v79, v65
	v_fma_f32 v109, v78, v65, -v112
	v_fma_f32 v67, v76, v69, -v111
	ds_store_b64 v113, v[70:71] offset:1944
	ds_store_b64 v113, v[67:68] offset:4104
	;; [unrolled: 1-line block ×3, first 2 shown]
.LBB0_21:
	s_wait_alu 0xfffe
	s_or_b32 exec_lo, exec_lo, s2
	global_wb scope:SCOPE_SE
	s_wait_dscnt 0x0
	s_barrier_signal -1
	s_barrier_wait -1
	global_inv scope:SCOPE_SE
	ds_load_2addr_b64 v[68:71], v113 offset1:81
	ds_load_2addr_b64 v[64:67], v64 offset0:34 offset1:142
	ds_load_2addr_b64 v[76:79], v73 offset0:28 offset1:109
	;; [unrolled: 1-line block ×3, first 2 shown]
	ds_load_b64 v[109:110], v113 offset:5616
	s_and_saveexec_b32 s0, vcc_lo
	s_cbranch_execz .LBB0_23
; %bb.22:
	ds_load_b64 v[105:106], v113 offset:1944
	ds_load_b64 v[107:108], v113 offset:4104
	;; [unrolled: 1-line block ×3, first 2 shown]
.LBB0_23:
	s_wait_alu 0xfffe
	s_or_b32 exec_lo, exec_lo, s0
	s_wait_dscnt 0x2
	v_dual_add_f32 v111, v66, v76 :: v_dual_add_f32 v112, v68, v66
	v_sub_f32_e32 v128, v67, v77
	v_add_f32_e32 v129, v67, v77
	v_add_f32_e32 v67, v69, v67
	s_delay_alu instid0(VALU_DEP_4)
	v_fma_f32 v111, -0.5, v111, v68
	s_wait_dscnt 0x1
	v_add_f32_e32 v68, v72, v78
	v_add_f32_e32 v127, v112, v76
	v_fma_f32 v112, -0.5, v129, v69
	global_wb scope:SCOPE_SE
	s_wait_dscnt 0x0
	v_dual_fmamk_f32 v129, v128, 0xbf5db3d7, v111 :: v_dual_sub_f32 v66, v66, v76
	v_dual_fmac_f32 v111, 0x3f5db3d7, v128 :: v_dual_add_f32 v128, v67, v77
	v_add_f32_e32 v67, v70, v72
	v_fma_f32 v70, -0.5, v68, v70
	v_sub_f32_e32 v68, v73, v79
	v_fmamk_f32 v130, v66, 0x3f5db3d7, v112
	v_fmac_f32_e32 v112, 0xbf5db3d7, v66
	v_add_f32_e32 v76, v67, v78
	v_dual_add_f32 v66, v73, v79 :: v_dual_add_f32 v67, v71, v73
	v_fmamk_f32 v131, v68, 0xbf5db3d7, v70
	s_barrier_signal -1
	s_barrier_wait -1
	v_add_f32_e32 v69, v108, v104
	v_add_f32_e32 v77, v67, v79
	v_dual_add_f32 v67, v64, v74 :: v_dual_fmac_f32 v70, 0x3f5db3d7, v68
	v_fmac_f32_e32 v71, -0.5, v66
	v_sub_f32_e32 v66, v72, v78
	v_add_f32_e32 v68, v74, v109
	global_inv scope:SCOPE_SE
	v_fmamk_f32 v132, v66, 0x3f5db3d7, v71
	v_fmac_f32_e32 v71, 0xbf5db3d7, v66
	v_fma_f32 v64, -0.5, v68, v64
	v_sub_f32_e32 v68, v75, v110
	v_add_f32_e32 v66, v65, v75
	v_add_f32_e32 v72, v67, v109
	;; [unrolled: 1-line block ×3, first 2 shown]
	v_sub_f32_e32 v75, v108, v104
	s_delay_alu instid0(VALU_DEP_4) | instskip(NEXT) | instid1(VALU_DEP_3)
	v_dual_fmamk_f32 v78, v68, 0xbf5db3d7, v64 :: v_dual_add_f32 v73, v66, v110
	v_fmac_f32_e32 v65, -0.5, v67
	v_fma_f32 v67, -0.5, v69, v106
	v_dual_sub_f32 v74, v74, v109 :: v_dual_sub_f32 v109, v107, v103
	s_delay_alu instid0(VALU_DEP_1) | instskip(NEXT) | instid1(VALU_DEP_2)
	v_dual_fmamk_f32 v69, v109, 0x3f5db3d7, v67 :: v_dual_fmac_f32 v64, 0x3f5db3d7, v68
	v_dual_fmamk_f32 v79, v74, 0x3f5db3d7, v65 :: v_dual_add_f32 v68, v107, v103
	v_fmac_f32_e32 v67, 0xbf5db3d7, v109
	s_delay_alu instid0(VALU_DEP_2) | instskip(NEXT) | instid1(VALU_DEP_1)
	v_fma_f32 v66, -0.5, v68, v105
	v_dual_fmac_f32 v65, 0xbf5db3d7, v74 :: v_dual_fmamk_f32 v68, v75, 0xbf5db3d7, v66
	v_fmac_f32_e32 v66, 0x3f5db3d7, v75
	ds_store_2addr_b64 v119, v[127:128], v[129:130] offset1:1
	ds_store_b64 v119, v[111:112] offset:16
	ds_store_2addr_b64 v118, v[76:77], v[131:132] offset1:1
	ds_store_b64 v118, v[70:71] offset:16
	;; [unrolled: 2-line block ×3, first 2 shown]
	s_and_saveexec_b32 s0, vcc_lo
	s_cbranch_execz .LBB0_25
; %bb.24:
	v_dual_add_f32 v64, v106, v108 :: v_dual_lshlrev_b32 v71, 3, v117
	s_delay_alu instid0(VALU_DEP_1) | instskip(NEXT) | instid1(VALU_DEP_1)
	v_dual_add_f32 v70, v105, v107 :: v_dual_add_f32 v65, v64, v104
	v_add_f32_e32 v64, v70, v103
	ds_store_2addr_b64 v71, v[64:65], v[68:69] offset1:1
	ds_store_b64 v71, v[66:67] offset:16
.LBB0_25:
	s_wait_alu 0xfffe
	s_or_b32 exec_lo, exec_lo, s0
	global_wb scope:SCOPE_SE
	s_wait_dscnt 0x0
	s_barrier_signal -1
	s_barrier_wait -1
	global_inv scope:SCOPE_SE
	ds_load_2addr_b64 v[70:73], v113 offset1:81
	ds_load_2addr_b64 v[74:77], v113 offset0:162 offset1:243
	v_add_nc_u32_e32 v78, 0x800, v113
	v_add_nc_u32_e32 v64, 0xc00, v113
	v_add_nc_u32_e32 v79, 0x1000, v113
	ds_load_2addr_b64 v[103:106], v78 offset0:68 offset1:149
	s_wait_dscnt 0x1
	v_mul_f32_e32 v65, v15, v75
	ds_load_2addr_b64 v[107:110], v64 offset0:102 offset1:183
	ds_load_2addr_b64 v[116:119], v79 offset0:136 offset1:217
	v_dual_mul_f32 v64, v13, v73 :: v_dual_mul_f32 v15, v15, v74
	v_mul_f32_e32 v13, v13, v72
	v_mul_f32_e32 v111, v9, v77
	global_wb scope:SCOPE_SE
	s_wait_dscnt 0x0
	v_fmac_f32_e32 v64, v12, v72
	s_barrier_signal -1
	v_fma_f32 v12, v12, v73, -v13
	v_fma_f32 v13, v14, v75, -v15
	s_barrier_wait -1
	global_inv scope:SCOPE_SE
	v_dual_mul_f32 v15, v7, v108 :: v_dual_mul_f32 v72, v102, v119
	v_fmac_f32_e32 v111, v8, v76
	v_dual_mul_f32 v7, v7, v107 :: v_dual_mul_f32 v102, v102, v118
	s_delay_alu instid0(VALU_DEP_3)
	v_fmac_f32_e32 v15, v6, v107
	v_fmac_f32_e32 v65, v14, v74
	v_mul_f32_e32 v14, v5, v106
	v_mul_f32_e32 v9, v9, v76
	v_mul_f32_e32 v5, v5, v105
	v_fma_f32 v6, v6, v108, -v7
	v_fmac_f32_e32 v72, v101, v118
	v_fmac_f32_e32 v14, v4, v105
	v_fma_f32 v8, v8, v77, -v9
	v_mul_f32_e32 v9, v11, v104
	v_mul_f32_e32 v11, v11, v103
	v_fma_f32 v4, v4, v106, -v5
	v_mul_f32_e32 v5, v3, v116
	v_mul_f32_e32 v3, v3, v117
	v_fmac_f32_e32 v9, v10, v103
	v_fma_f32 v10, v10, v104, -v11
	v_add_f32_e32 v103, v71, v13
	v_fma_f32 v5, v2, v117, -v5
	v_fmac_f32_e32 v3, v2, v116
	v_mul_f32_e32 v11, v1, v110
	v_dual_add_f32 v7, v9, v15 :: v_dual_sub_f32 v2, v10, v6
	v_add_f32_e32 v104, v10, v6
	s_delay_alu instid0(VALU_DEP_3) | instskip(SKIP_1) | instid1(VALU_DEP_4)
	v_dual_sub_f32 v76, v3, v15 :: v_dual_fmac_f32 v11, v0, v109
	v_add_f32_e32 v73, v70, v65
	v_fma_f32 v74, -0.5, v7, v70
	v_sub_f32_e32 v7, v13, v5
	v_mul_f32_e32 v1, v1, v109
	v_add_f32_e32 v77, v65, v3
	s_delay_alu instid0(VALU_DEP_2) | instskip(SKIP_4) | instid1(VALU_DEP_3)
	v_fma_f32 v0, v0, v110, -v1
	v_add_f32_e32 v1, v73, v9
	v_fmamk_f32 v73, v7, 0xbf737871, v74
	v_fmac_f32_e32 v74, 0x3f737871, v7
	v_fma_f32 v70, -0.5, v77, v70
	v_fmac_f32_e32 v73, 0xbf167918, v2
	s_delay_alu instid0(VALU_DEP_3) | instskip(NEXT) | instid1(VALU_DEP_1)
	v_dual_fmac_f32 v74, 0x3f167918, v2 :: v_dual_sub_f32 v75, v65, v9
	v_add_f32_e32 v75, v75, v76
	v_fma_f32 v76, v101, v119, -v102
	v_fmamk_f32 v101, v2, 0x3f737871, v70
	v_fmac_f32_e32 v70, 0xbf737871, v2
	s_delay_alu instid0(VALU_DEP_4) | instskip(SKIP_1) | instid1(VALU_DEP_4)
	v_dual_add_f32 v2, v103, v10 :: v_dual_fmac_f32 v73, 0x3e9e377a, v75
	v_fmac_f32_e32 v74, 0x3e9e377a, v75
	v_fmac_f32_e32 v101, 0xbf167918, v7
	s_delay_alu instid0(VALU_DEP_4) | instskip(NEXT) | instid1(VALU_DEP_4)
	v_fmac_f32_e32 v70, 0x3f167918, v7
	v_dual_add_f32 v2, v2, v6 :: v_dual_add_f32 v7, v13, v5
	v_dual_sub_f32 v75, v5, v6 :: v_dual_sub_f32 v102, v15, v3
	s_delay_alu instid0(VALU_DEP_2) | instskip(SKIP_4) | instid1(VALU_DEP_2)
	v_add_f32_e32 v103, v2, v5
	v_sub_f32_e32 v2, v10, v13
	v_sub_f32_e32 v5, v6, v5
	v_add_f32_e32 v1, v1, v15
	v_add_f32_e32 v6, v64, v111
	v_dual_add_f32 v2, v2, v5 :: v_dual_add_f32 v77, v1, v3
	v_sub_f32_e32 v1, v9, v65
	v_sub_f32_e32 v9, v9, v15
	;; [unrolled: 1-line block ×3, first 2 shown]
	v_add_f32_e32 v5, v6, v14
	s_delay_alu instid0(VALU_DEP_4) | instskip(SKIP_3) | instid1(VALU_DEP_4)
	v_dual_add_f32 v6, v14, v11 :: v_dual_add_f32 v1, v1, v102
	v_fma_f32 v102, -0.5, v104, v71
	v_fma_f32 v71, -0.5, v7, v71
	v_sub_f32_e32 v7, v72, v11
	v_dual_sub_f32 v13, v14, v111 :: v_dual_fmac_f32 v70, 0x3e9e377a, v1
	v_sub_f32_e32 v3, v65, v3
	v_fmac_f32_e32 v101, 0x3e9e377a, v1
	v_add_f32_e32 v1, v15, v75
	v_fmamk_f32 v15, v9, 0xbf737871, v71
	v_fmac_f32_e32 v71, 0x3f737871, v9
	v_fmamk_f32 v65, v3, 0x3f737871, v102
	v_fmac_f32_e32 v102, 0xbf737871, v3
	s_delay_alu instid0(VALU_DEP_4) | instskip(NEXT) | instid1(VALU_DEP_3)
	v_fmac_f32_e32 v15, 0x3f167918, v3
	v_fmac_f32_e32 v65, 0x3f167918, v9
	s_delay_alu instid0(VALU_DEP_3) | instskip(NEXT) | instid1(VALU_DEP_3)
	v_fmac_f32_e32 v102, 0xbf167918, v9
	v_fmac_f32_e32 v15, 0x3e9e377a, v2
	s_delay_alu instid0(VALU_DEP_3) | instskip(NEXT) | instid1(VALU_DEP_3)
	v_fmac_f32_e32 v65, 0x3e9e377a, v1
	v_dual_fmac_f32 v102, 0x3e9e377a, v1 :: v_dual_add_f32 v1, v5, v11
	v_add_f32_e32 v5, v111, v72
	s_delay_alu instid0(VALU_DEP_2) | instskip(SKIP_2) | instid1(VALU_DEP_4)
	v_dual_add_f32 v10, v1, v72 :: v_dual_fmac_f32 v71, 0xbf167918, v3
	v_fma_f32 v3, -0.5, v6, v64
	v_sub_f32_e32 v6, v8, v76
	v_dual_sub_f32 v1, v4, v0 :: v_dual_fmac_f32 v64, -0.5, v5
	s_delay_alu instid0(VALU_DEP_4) | instskip(NEXT) | instid1(VALU_DEP_3)
	v_fmac_f32_e32 v71, 0x3e9e377a, v2
	v_dual_sub_f32 v2, v111, v14 :: v_dual_fmamk_f32 v5, v6, 0xbf737871, v3
	v_fmac_f32_e32 v3, 0x3f737871, v6
	s_delay_alu instid0(VALU_DEP_4) | instskip(SKIP_1) | instid1(VALU_DEP_4)
	v_fmamk_f32 v9, v1, 0x3f737871, v64
	v_fmac_f32_e32 v64, 0xbf737871, v1
	v_dual_add_f32 v2, v2, v7 :: v_dual_fmac_f32 v5, 0xbf167918, v1
	s_delay_alu instid0(VALU_DEP_4) | instskip(NEXT) | instid1(VALU_DEP_3)
	v_fmac_f32_e32 v3, 0x3f167918, v1
	v_dual_add_f32 v1, v4, v0 :: v_dual_fmac_f32 v64, 0x3f167918, v6
	s_delay_alu instid0(VALU_DEP_3) | instskip(NEXT) | instid1(VALU_DEP_3)
	v_fmac_f32_e32 v5, 0x3e9e377a, v2
	v_dual_fmac_f32 v3, 0x3e9e377a, v2 :: v_dual_add_f32 v2, v8, v76
	v_sub_f32_e32 v75, v11, v72
	s_delay_alu instid0(VALU_DEP_4) | instskip(SKIP_1) | instid1(VALU_DEP_3)
	v_fma_f32 v1, -0.5, v1, v12
	v_dual_sub_f32 v11, v14, v11 :: v_dual_sub_f32 v14, v76, v0
	v_add_f32_e32 v7, v13, v75
	v_dual_add_f32 v13, v12, v8 :: v_dual_fmac_f32 v12, -0.5, v2
	v_dual_sub_f32 v2, v8, v4 :: v_dual_fmac_f32 v9, 0xbf167918, v6
	v_sub_f32_e32 v6, v111, v72
	v_sub_f32_e32 v8, v4, v8
	s_delay_alu instid0(VALU_DEP_4) | instskip(SKIP_3) | instid1(VALU_DEP_4)
	v_dual_fmamk_f32 v72, v11, 0xbf737871, v12 :: v_dual_sub_f32 v75, v0, v76
	v_fmac_f32_e32 v12, 0x3f737871, v11
	v_fmac_f32_e32 v64, 0x3e9e377a, v7
	v_add_f32_e32 v2, v2, v14
	v_fmac_f32_e32 v72, 0x3f167918, v6
	v_add_f32_e32 v8, v8, v75
	;; [unrolled: 2-line block ×3, first 2 shown]
	s_delay_alu instid0(VALU_DEP_3) | instskip(NEXT) | instid1(VALU_DEP_3)
	v_fmac_f32_e32 v72, 0x3e9e377a, v8
	v_fmac_f32_e32 v12, 0x3e9e377a, v8
	s_delay_alu instid0(VALU_DEP_3) | instskip(NEXT) | instid1(VALU_DEP_3)
	v_add_f32_e32 v0, v4, v0
	v_mul_f32_e32 v13, 0xbf737871, v72
	s_delay_alu instid0(VALU_DEP_3)
	v_mul_f32_e32 v106, 0xbe9e377a, v12
	v_mul_f32_e32 v75, 0xbf737871, v12
	;; [unrolled: 1-line block ×3, first 2 shown]
	v_add_f32_e32 v76, v0, v76
	v_add_f32_e32 v0, v77, v10
	v_fmac_f32_e32 v106, 0x3f737871, v64
	v_fmac_f32_e32 v9, 0x3e9e377a, v7
	v_fmamk_f32 v7, v6, 0x3f737871, v1
	v_fmac_f32_e32 v1, 0xbf737871, v6
	v_dual_fmac_f32 v75, 0xbe9e377a, v64 :: v_dual_sub_f32 v10, v77, v10
	s_delay_alu instid0(VALU_DEP_4) | instskip(NEXT) | instid1(VALU_DEP_4)
	v_fmac_f32_e32 v13, 0x3e9e377a, v9
	v_fmac_f32_e32 v7, 0x3f167918, v11
	s_delay_alu instid0(VALU_DEP_4) | instskip(SKIP_2) | instid1(VALU_DEP_4)
	v_fmac_f32_e32 v1, 0xbf167918, v11
	v_fmac_f32_e32 v72, 0x3f737871, v9
	v_add_f32_e32 v6, v70, v75
	v_dual_sub_f32 v14, v101, v13 :: v_dual_fmac_f32 v7, 0x3e9e377a, v2
	s_delay_alu instid0(VALU_DEP_4) | instskip(SKIP_1) | instid1(VALU_DEP_3)
	v_dual_fmac_f32 v1, 0x3e9e377a, v2 :: v_dual_add_f32 v4, v101, v13
	v_sub_f32_e32 v70, v70, v75
	v_mul_f32_e32 v11, 0xbf167918, v7
	v_mul_f32_e32 v105, 0x3f4f1bbd, v7
	s_delay_alu instid0(VALU_DEP_4)
	v_mul_f32_e32 v104, 0xbf167918, v1
	v_mul_f32_e32 v107, 0xbf4f1bbd, v1
	v_add_f32_e32 v1, v103, v76
	v_fmac_f32_e32 v11, 0x3f4f1bbd, v5
	v_fmac_f32_e32 v105, 0x3f167918, v5
	;; [unrolled: 1-line block ×4, first 2 shown]
	s_delay_alu instid0(VALU_DEP_4) | instskip(NEXT) | instid1(VALU_DEP_4)
	v_dual_add_f32 v7, v71, v106 :: v_dual_add_f32 v2, v73, v11
	v_add_f32_e32 v3, v65, v105
	v_add_f32_e32 v5, v15, v72
	;; [unrolled: 1-line block ×4, first 2 shown]
	v_dual_sub_f32 v12, v73, v11 :: v_dual_sub_f32 v11, v103, v76
	v_sub_f32_e32 v13, v65, v105
	v_sub_f32_e32 v15, v15, v72
	v_dual_sub_f32 v64, v74, v104 :: v_dual_sub_f32 v71, v71, v106
	v_sub_f32_e32 v65, v102, v107
	ds_store_2addr_b64 v115, v[0:1], v[2:3] offset1:3
	ds_store_2addr_b64 v115, v[4:5], v[6:7] offset0:6 offset1:9
	ds_store_2addr_b64 v115, v[8:9], v[10:11] offset0:12 offset1:15
	;; [unrolled: 1-line block ×4, first 2 shown]
	v_add_nc_u32_e32 v0, 0x400, v113
	global_wb scope:SCOPE_SE
	s_wait_dscnt 0x0
	s_barrier_signal -1
	s_barrier_wait -1
	global_inv scope:SCOPE_SE
	ds_load_2addr_b64 v[4:7], v113 offset1:81
	ds_load_2addr_b64 v[0:3], v0 offset0:34 offset1:142
	ds_load_2addr_b64 v[12:15], v79 offset0:28 offset1:109
	ds_load_2addr_b64 v[8:11], v78 offset0:95 offset1:176
	ds_load_b64 v[70:71], v113 offset:5616
	s_and_saveexec_b32 s0, vcc_lo
	s_cbranch_execz .LBB0_27
; %bb.26:
	ds_load_b64 v[64:65], v113 offset:1944
	ds_load_b64 v[68:69], v113 offset:4104
	;; [unrolled: 1-line block ×3, first 2 shown]
.LBB0_27:
	s_wait_alu 0xfffe
	s_or_b32 exec_lo, exec_lo, s0
	s_wait_dscnt 0x2
	v_dual_mul_f32 v72, v29, v3 :: v_dual_mul_f32 v73, v31, v13
	v_mul_f32_e32 v29, v29, v2
	v_mul_f32_e32 v31, v31, v12
	global_wb scope:SCOPE_SE
	s_wait_dscnt 0x0
	v_fmac_f32_e32 v72, v28, v2
	v_mul_f32_e32 v2, v25, v8
	v_fma_f32 v3, v28, v3, -v29
	v_dual_mul_f32 v28, v25, v9 :: v_dual_fmac_f32 v73, v30, v12
	v_fma_f32 v12, v30, v13, -v31
	v_mul_f32_e32 v13, v27, v15
	s_delay_alu instid0(VALU_DEP_3)
	v_dual_mul_f32 v25, v21, v11 :: v_dual_fmac_f32 v28, v24, v8
	v_mul_f32_e32 v8, v27, v14
	v_fma_f32 v24, v24, v9, -v2
	v_mul_f32_e32 v2, v21, v10
	v_fmac_f32_e32 v13, v26, v14
	v_fmac_f32_e32 v25, v20, v10
	v_fma_f32 v14, v26, v15, -v8
	v_mul_f32_e32 v15, v23, v71
	v_dual_mul_f32 v8, v23, v70 :: v_dual_mul_f32 v23, v17, v69
	v_fma_f32 v20, v20, v11, -v2
	s_delay_alu instid0(VALU_DEP_3) | instskip(NEXT) | instid1(VALU_DEP_3)
	v_dual_mul_f32 v2, v17, v68 :: v_dual_fmac_f32 v15, v22, v70
	v_fma_f32 v17, v22, v71, -v8
	s_delay_alu instid0(VALU_DEP_4) | instskip(SKIP_1) | instid1(VALU_DEP_4)
	v_dual_mul_f32 v22, v19, v67 :: v_dual_fmac_f32 v23, v16, v68
	v_mul_f32_e32 v8, v19, v66
	v_fma_f32 v16, v16, v69, -v2
	v_add_f32_e32 v2, v72, v73
	s_delay_alu instid0(VALU_DEP_4) | instskip(NEXT) | instid1(VALU_DEP_4)
	v_dual_fmac_f32 v22, v18, v66 :: v_dual_add_f32 v9, v4, v72
	v_fma_f32 v19, v18, v67, -v8
	v_add_f32_e32 v8, v3, v12
	s_delay_alu instid0(VALU_DEP_4) | instskip(SKIP_4) | instid1(VALU_DEP_4)
	v_fma_f32 v2, -0.5, v2, v4
	v_dual_sub_f32 v10, v3, v12 :: v_dual_sub_f32 v11, v72, v73
	v_add_f32_e32 v4, v9, v73
	v_add_f32_e32 v9, v5, v3
	v_fma_f32 v3, -0.5, v8, v5
	v_fmamk_f32 v8, v10, 0xbf5db3d7, v2
	v_dual_fmac_f32 v2, 0x3f5db3d7, v10 :: v_dual_add_f32 v21, v7, v24
	s_delay_alu instid0(VALU_DEP_4) | instskip(NEXT) | instid1(VALU_DEP_4)
	v_dual_add_f32 v10, v28, v13 :: v_dual_add_f32 v5, v9, v12
	v_fmamk_f32 v9, v11, 0x3f5db3d7, v3
	v_dual_fmac_f32 v3, 0xbf5db3d7, v11 :: v_dual_add_f32 v12, v6, v28
	v_add_f32_e32 v11, v24, v14
	s_delay_alu instid0(VALU_DEP_4) | instskip(SKIP_2) | instid1(VALU_DEP_4)
	v_fma_f32 v6, -0.5, v10, v6
	v_sub_f32_e32 v18, v24, v14
	v_sub_f32_e32 v24, v28, v13
	v_dual_add_f32 v10, v12, v13 :: v_dual_fmac_f32 v7, -0.5, v11
	s_delay_alu instid0(VALU_DEP_3)
	v_dual_add_f32 v11, v21, v14 :: v_dual_fmamk_f32 v12, v18, 0xbf5db3d7, v6
	v_fmac_f32_e32 v6, 0x3f5db3d7, v18
	v_dual_add_f32 v14, v25, v15 :: v_dual_add_f32 v21, v20, v17
	v_dual_add_f32 v18, v0, v25 :: v_dual_sub_f32 v25, v25, v15
	v_fmamk_f32 v13, v24, 0x3f5db3d7, v7
	v_fmac_f32_e32 v7, 0xbf5db3d7, v24
	s_delay_alu instid0(VALU_DEP_4) | instskip(NEXT) | instid1(VALU_DEP_4)
	v_fma_f32 v0, -0.5, v14, v0
	v_add_f32_e32 v14, v18, v15
	v_dual_add_f32 v18, v1, v20 :: v_dual_fmac_f32 v1, -0.5, v21
	v_sub_f32_e32 v24, v20, v17
	s_barrier_signal -1
	s_barrier_wait -1
	global_inv scope:SCOPE_SE
	v_fmamk_f32 v21, v25, 0x3f5db3d7, v1
	v_dual_fmac_f32 v1, 0xbf5db3d7, v25 :: v_dual_fmamk_f32 v20, v24, 0xbf5db3d7, v0
	v_add_f32_e32 v15, v18, v17
	v_dual_add_f32 v17, v23, v22 :: v_dual_add_f32 v18, v16, v19
	v_add_f32_e32 v25, v65, v16
	v_fmac_f32_e32 v0, 0x3f5db3d7, v24
	v_add_f32_e32 v24, v64, v23
	s_delay_alu instid0(VALU_DEP_4) | instskip(SKIP_2) | instid1(VALU_DEP_4)
	v_dual_fmac_f32 v64, -0.5, v17 :: v_dual_sub_f32 v23, v23, v22
	v_sub_f32_e32 v17, v16, v19
	v_fmac_f32_e32 v65, -0.5, v18
	v_add_f32_e32 v16, v24, v22
	ds_store_2addr_b64 v122, v[4:5], v[8:9] offset1:30
	ds_store_b64 v122, v[2:3] offset:480
	ds_store_2addr_b64 v121, v[10:11], v[12:13] offset1:30
	ds_store_b64 v121, v[6:7] offset:480
	;; [unrolled: 2-line block ×3, first 2 shown]
	v_fmamk_f32 v18, v17, 0xbf5db3d7, v64
	v_dual_fmac_f32 v64, 0x3f5db3d7, v17 :: v_dual_add_f32 v17, v25, v19
	v_fmamk_f32 v19, v23, 0x3f5db3d7, v65
	v_fmac_f32_e32 v65, 0xbf5db3d7, v23
	s_and_saveexec_b32 s0, vcc_lo
	s_cbranch_execz .LBB0_29
; %bb.28:
	v_lshlrev_b32_e32 v0, 3, v123
	s_delay_alu instid0(VALU_DEP_1)
	v_add_nc_u32_e32 v1, 0x1000, v0
	ds_store_2addr_b64 v1, v[16:17], v[18:19] offset0:208 offset1:238
	ds_store_b64 v0, v[64:65] offset:6240
.LBB0_29:
	s_wait_alu 0xfffe
	s_or_b32 exec_lo, exec_lo, s0
	v_add_nc_u32_e32 v0, 0x400, v113
	v_add_nc_u32_e32 v8, 0x1000, v113
	;; [unrolled: 1-line block ×3, first 2 shown]
	global_wb scope:SCOPE_SE
	s_wait_dscnt 0x0
	s_barrier_signal -1
	s_barrier_wait -1
	global_inv scope:SCOPE_SE
	ds_load_2addr_b64 v[4:7], v113 offset1:81
	ds_load_2addr_b64 v[0:3], v0 offset0:34 offset1:142
	ds_load_2addr_b64 v[12:15], v8 offset0:28 offset1:109
	;; [unrolled: 1-line block ×3, first 2 shown]
	ds_load_b64 v[20:21], v113 offset:5616
	s_and_saveexec_b32 s0, vcc_lo
	s_cbranch_execz .LBB0_31
; %bb.30:
	ds_load_b64 v[16:17], v113 offset:1944
	ds_load_b64 v[18:19], v113 offset:4104
	;; [unrolled: 1-line block ×3, first 2 shown]
.LBB0_31:
	s_wait_alu 0xfffe
	s_or_b32 exec_lo, exec_lo, s0
	s_wait_dscnt 0x2
	v_dual_mul_f32 v22, v37, v3 :: v_dual_mul_f32 v25, v39, v12
	v_dual_mul_f32 v23, v37, v2 :: v_dual_mul_f32 v24, v39, v13
	s_wait_dscnt 0x1
	v_mul_f32_e32 v26, v45, v11
	s_delay_alu instid0(VALU_DEP_3)
	v_fmac_f32_e32 v22, v36, v2
	global_wb scope:SCOPE_SE
	s_wait_dscnt 0x0
	v_fma_f32 v3, v36, v3, -v23
	v_dual_mul_f32 v23, v49, v9 :: v_dual_fmac_f32 v24, v38, v12
	v_fma_f32 v12, v38, v13, -v25
	v_dual_mul_f32 v13, v51, v15 :: v_dual_mul_f32 v2, v49, v8
	s_delay_alu instid0(VALU_DEP_3) | instskip(SKIP_1) | instid1(VALU_DEP_2)
	v_dual_fmac_f32 v23, v48, v8 :: v_dual_mul_f32 v8, v51, v14
	s_barrier_signal -1
	v_fmac_f32_e32 v13, v50, v14
	s_delay_alu instid0(VALU_DEP_3)
	v_fma_f32 v25, v48, v9, -v2
	v_add_f32_e32 v9, v4, v22
	v_fma_f32 v14, v50, v15, -v8
	v_dual_mul_f32 v15, v47, v21 :: v_dual_mul_f32 v2, v45, v10
	v_mul_f32_e32 v8, v47, v20
	v_fmac_f32_e32 v26, v44, v10
	v_sub_f32_e32 v10, v3, v12
	s_delay_alu instid0(VALU_DEP_4)
	v_fmac_f32_e32 v15, v46, v20
	v_fma_f32 v27, v44, v11, -v2
	v_dual_mul_f32 v2, v41, v18 :: v_dual_sub_f32 v11, v22, v24
	v_fma_f32 v20, v46, v21, -v8
	v_dual_mul_f32 v21, v43, v65 :: v_dual_mul_f32 v28, v41, v19
	v_mul_f32_e32 v8, v43, v64
	s_barrier_wait -1
	global_inv scope:SCOPE_SE
	v_dual_fmac_f32 v21, v42, v64 :: v_dual_fmac_f32 v28, v40, v18
	v_fma_f32 v18, v40, v19, -v2
	v_add_f32_e32 v2, v22, v24
	v_fma_f32 v19, v42, v65, -v8
	v_add_f32_e32 v8, v3, v12
	s_delay_alu instid0(VALU_DEP_3) | instskip(SKIP_2) | instid1(VALU_DEP_4)
	v_fma_f32 v2, -0.5, v2, v4
	v_add_f32_e32 v4, v9, v24
	v_add_f32_e32 v9, v5, v3
	v_fma_f32 v3, -0.5, v8, v5
	s_delay_alu instid0(VALU_DEP_2) | instskip(NEXT) | instid1(VALU_DEP_2)
	v_dual_add_f32 v24, v7, v25 :: v_dual_add_f32 v5, v9, v12
	v_fmamk_f32 v9, v11, 0x3f5db3d7, v3
	v_fmac_f32_e32 v3, 0xbf5db3d7, v11
	v_dual_add_f32 v11, v25, v14 :: v_dual_add_f32 v12, v6, v23
	s_delay_alu instid0(VALU_DEP_1) | instskip(SKIP_4) | instid1(VALU_DEP_3)
	v_dual_fmac_f32 v7, -0.5, v11 :: v_dual_fmamk_f32 v8, v10, 0xbf5db3d7, v2
	v_fmac_f32_e32 v2, 0x3f5db3d7, v10
	v_add_f32_e32 v10, v23, v13
	v_dual_sub_f32 v23, v23, v13 :: v_dual_sub_f32 v22, v25, v14
	v_add_f32_e32 v25, v1, v27
	v_fma_f32 v6, -0.5, v10, v6
	s_delay_alu instid0(VALU_DEP_3) | instskip(SKIP_1) | instid1(VALU_DEP_3)
	v_dual_add_f32 v10, v12, v13 :: v_dual_fmamk_f32 v13, v23, 0x3f5db3d7, v7
	v_fmac_f32_e32 v7, 0xbf5db3d7, v23
	v_dual_add_f32 v23, v27, v20 :: v_dual_fmamk_f32 v12, v22, 0xbf5db3d7, v6
	s_delay_alu instid0(VALU_DEP_1) | instskip(SKIP_4) | instid1(VALU_DEP_2)
	v_dual_fmac_f32 v1, -0.5, v23 :: v_dual_fmac_f32 v6, 0x3f5db3d7, v22
	v_dual_add_f32 v11, v24, v14 :: v_dual_add_f32 v14, v26, v15
	v_add_f32_e32 v22, v0, v26
	v_sub_f32_e32 v26, v26, v15
	v_dual_sub_f32 v24, v27, v20 :: v_dual_add_f32 v27, v17, v18
	v_fmamk_f32 v23, v26, 0x3f5db3d7, v1
	v_fmac_f32_e32 v1, 0xbf5db3d7, v26
	v_fma_f32 v0, -0.5, v14, v0
	v_dual_add_f32 v14, v22, v15 :: v_dual_add_f32 v15, v25, v20
	v_dual_add_f32 v25, v16, v28 :: v_dual_sub_f32 v26, v18, v19
	s_delay_alu instid0(VALU_DEP_3) | instskip(SKIP_2) | instid1(VALU_DEP_4)
	v_fmamk_f32 v22, v24, 0xbf5db3d7, v0
	v_fmac_f32_e32 v0, 0x3f5db3d7, v24
	v_add_f32_e32 v24, v18, v19
	v_dual_add_f32 v19, v27, v19 :: v_dual_add_f32 v18, v25, v21
	ds_store_2addr_b64 v113, v[4:5], v[8:9] offset1:90
	ds_store_b64 v113, v[2:3] offset:1440
	ds_store_2addr_b64 v125, v[10:11], v[12:13] offset1:90
	ds_store_b64 v125, v[6:7] offset:1440
	;; [unrolled: 2-line block ×3, first 2 shown]
	v_dual_fmac_f32 v17, -0.5, v24 :: v_dual_sub_f32 v24, v28, v21
	v_add_f32_e32 v20, v28, v21
	s_delay_alu instid0(VALU_DEP_2) | instskip(SKIP_1) | instid1(VALU_DEP_3)
	v_fmamk_f32 v21, v24, 0x3f5db3d7, v17
	v_fmac_f32_e32 v17, 0xbf5db3d7, v24
	v_fmac_f32_e32 v16, -0.5, v20
	s_delay_alu instid0(VALU_DEP_1)
	v_fmamk_f32 v20, v26, 0xbf5db3d7, v16
	v_fmac_f32_e32 v16, 0x3f5db3d7, v26
	s_and_saveexec_b32 s0, vcc_lo
	s_cbranch_execz .LBB0_33
; %bb.32:
	v_lshlrev_b32_e32 v0, 3, v126
	s_delay_alu instid0(VALU_DEP_1)
	v_add_nc_u32_e32 v1, 0x1000, v0
	ds_store_2addr_b64 v1, v[18:19], v[20:21] offset0:28 offset1:118
	ds_store_b64 v0, v[16:17] offset:5760
.LBB0_33:
	s_wait_alu 0xfffe
	s_or_b32 exec_lo, exec_lo, s0
	v_add_nc_u32_e32 v4, 0x400, v113
	v_add_nc_u32_e32 v24, 0x1000, v113
	;; [unrolled: 1-line block ×3, first 2 shown]
	global_wb scope:SCOPE_SE
	s_wait_dscnt 0x0
	s_barrier_signal -1
	s_barrier_wait -1
	global_inv scope:SCOPE_SE
	ds_load_2addr_b64 v[0:3], v113 offset1:81
	ds_load_2addr_b64 v[4:7], v4 offset0:34 offset1:142
	ds_load_2addr_b64 v[12:15], v24 offset0:28 offset1:109
	;; [unrolled: 1-line block ×3, first 2 shown]
	ds_load_b64 v[22:23], v113 offset:5616
	s_and_saveexec_b32 s0, vcc_lo
	s_cbranch_execz .LBB0_35
; %bb.34:
	ds_load_b64 v[18:19], v113 offset:1944
	ds_load_b64 v[20:21], v113 offset:4104
	;; [unrolled: 1-line block ×3, first 2 shown]
.LBB0_35:
	s_wait_alu 0xfffe
	s_or_b32 exec_lo, exec_lo, s0
	s_wait_dscnt 0x2
	v_dual_mul_f32 v26, v57, v7 :: v_dual_mul_f32 v29, v59, v12
	v_dual_mul_f32 v27, v57, v6 :: v_dual_mul_f32 v28, v59, v13
	s_delay_alu instid0(VALU_DEP_2) | instskip(NEXT) | instid1(VALU_DEP_2)
	v_fmac_f32_e32 v26, v56, v6
	v_fma_f32 v7, v56, v7, -v27
	s_wait_dscnt 0x1
	s_delay_alu instid0(VALU_DEP_3) | instskip(SKIP_2) | instid1(VALU_DEP_3)
	v_dual_mul_f32 v27, v61, v9 :: v_dual_fmac_f32 v28, v58, v12
	v_fma_f32 v12, v58, v13, -v29
	v_dual_mul_f32 v13, v63, v15 :: v_dual_mul_f32 v6, v61, v8
	v_dual_fmac_f32 v27, v60, v8 :: v_dual_mul_f32 v8, v63, v14
	s_delay_alu instid0(VALU_DEP_2) | instskip(NEXT) | instid1(VALU_DEP_3)
	v_fmac_f32_e32 v13, v62, v14
	v_fma_f32 v29, v60, v9, -v6
	v_mul_f32_e32 v6, v53, v10
	s_delay_alu instid0(VALU_DEP_4)
	v_fma_f32 v14, v62, v15, -v8
	s_wait_dscnt 0x0
	v_mul_f32_e32 v15, v55, v23
	v_mul_f32_e32 v8, v55, v22
	;; [unrolled: 1-line block ×3, first 2 shown]
	v_fma_f32 v31, v52, v11, -v6
	v_dual_add_f32 v6, v26, v28 :: v_dual_add_f32 v9, v0, v26
	v_sub_f32_e32 v11, v26, v28
	v_fma_f32 v23, v54, v23, -v8
	v_dual_add_f32 v8, v7, v12 :: v_dual_fmac_f32 v15, v54, v22
	v_fmac_f32_e32 v30, v52, v10
	v_fma_f32 v0, -0.5, v6, v0
	v_dual_sub_f32 v10, v7, v12 :: v_dual_add_f32 v7, v1, v7
	s_delay_alu instid0(VALU_DEP_4) | instskip(SKIP_2) | instid1(VALU_DEP_4)
	v_fma_f32 v1, -0.5, v8, v1
	v_add_f32_e32 v6, v9, v28
	v_add_f32_e32 v26, v3, v29
	v_dual_add_f32 v28, v5, v31 :: v_dual_add_f32 v7, v7, v12
	s_delay_alu instid0(VALU_DEP_4)
	v_fmamk_f32 v9, v11, 0x3f5db3d7, v1
	v_fmac_f32_e32 v1, 0xbf5db3d7, v11
	v_dual_add_f32 v11, v29, v14 :: v_dual_fmamk_f32 v8, v10, 0xbf5db3d7, v0
	v_fmac_f32_e32 v0, 0x3f5db3d7, v10
	v_add_f32_e32 v10, v27, v13
	v_dual_add_f32 v12, v2, v27 :: v_dual_sub_f32 v27, v27, v13
	s_delay_alu instid0(VALU_DEP_4) | instskip(SKIP_1) | instid1(VALU_DEP_4)
	v_dual_fmac_f32 v3, -0.5, v11 :: v_dual_sub_f32 v22, v29, v14
	v_add_f32_e32 v11, v26, v14
	v_fma_f32 v2, -0.5, v10, v2
	s_delay_alu instid0(VALU_DEP_3) | instskip(SKIP_2) | instid1(VALU_DEP_4)
	v_dual_add_f32 v10, v12, v13 :: v_dual_fmamk_f32 v13, v27, 0x3f5db3d7, v3
	v_fmac_f32_e32 v3, 0xbf5db3d7, v27
	v_sub_f32_e32 v29, v30, v15
	v_dual_fmamk_f32 v12, v22, 0xbf5db3d7, v2 :: v_dual_sub_f32 v27, v31, v23
	v_fmac_f32_e32 v2, 0x3f5db3d7, v22
	v_add_f32_e32 v22, v31, v23
	v_add_f32_e32 v26, v4, v30
	s_delay_alu instid0(VALU_DEP_2) | instskip(NEXT) | instid1(VALU_DEP_1)
	v_dual_fmac_f32 v5, -0.5, v22 :: v_dual_add_f32 v14, v30, v15
	v_fma_f32 v4, -0.5, v14, v4
	s_delay_alu instid0(VALU_DEP_3) | instskip(SKIP_1) | instid1(VALU_DEP_4)
	v_add_f32_e32 v14, v26, v15
	v_add_f32_e32 v15, v28, v23
	v_fmamk_f32 v23, v29, 0x3f5db3d7, v5
	s_delay_alu instid0(VALU_DEP_4)
	v_dual_fmac_f32 v5, 0xbf5db3d7, v29 :: v_dual_fmamk_f32 v22, v27, 0xbf5db3d7, v4
	v_fmac_f32_e32 v4, 0x3f5db3d7, v27
	ds_store_b64 v113, v[8:9] offset:2160
	ds_store_b64 v113, v[0:1] offset:4320
	ds_store_2addr_b64 v113, v[6:7], v[10:11] offset1:81
	ds_store_b64 v113, v[14:15] offset:1296
	ds_store_2addr_b64 v25, v[12:13], v[22:23] offset0:95 offset1:176
	ds_store_2addr_b64 v24, v[2:3], v[4:5] offset0:109 offset1:190
	s_and_saveexec_b32 s0, vcc_lo
	s_cbranch_execz .LBB0_37
; %bb.36:
	v_dual_mul_f32 v1, v35, v16 :: v_dual_mul_f32 v2, v33, v21
	s_delay_alu instid0(VALU_DEP_1) | instskip(SKIP_1) | instid1(VALU_DEP_1)
	v_fma_f32 v3, v34, v17, -v1
	v_mul_f32_e32 v0, v33, v20
	v_fma_f32 v0, v32, v21, -v0
	s_delay_alu instid0(VALU_DEP_1) | instskip(SKIP_1) | instid1(VALU_DEP_2)
	v_dual_mul_f32 v4, v35, v17 :: v_dual_add_f32 v1, v0, v3
	v_sub_f32_e32 v8, v0, v3
	v_fma_f32 v1, -0.5, v1, v19
	v_fmac_f32_e32 v2, v32, v20
	s_delay_alu instid0(VALU_DEP_4) | instskip(SKIP_1) | instid1(VALU_DEP_2)
	v_fmac_f32_e32 v4, v34, v16
	v_add_f32_e32 v7, v19, v0
	v_sub_f32_e32 v6, v2, v4
	v_add_f32_e32 v5, v2, v4
	s_delay_alu instid0(VALU_DEP_1) | instskip(NEXT) | instid1(VALU_DEP_3)
	v_fma_f32 v0, -0.5, v5, v18
	v_fmamk_f32 v5, v6, 0xbf5db3d7, v1
	v_dual_add_f32 v2, v18, v2 :: v_dual_add_f32 v3, v7, v3
	s_delay_alu instid0(VALU_DEP_1) | instskip(NEXT) | instid1(VALU_DEP_4)
	v_dual_fmac_f32 v1, 0x3f5db3d7, v6 :: v_dual_add_f32 v2, v2, v4
	v_fmamk_f32 v4, v8, 0x3f5db3d7, v0
	v_fmac_f32_e32 v0, 0xbf5db3d7, v8
	ds_store_b64 v113, v[2:3] offset:1944
	ds_store_b64 v113, v[0:1] offset:4104
	;; [unrolled: 1-line block ×3, first 2 shown]
.LBB0_37:
	s_wait_alu 0xfffe
	s_or_b32 exec_lo, exec_lo, s0
	global_wb scope:SCOPE_SE
	s_wait_dscnt 0x0
	s_barrier_signal -1
	s_barrier_wait -1
	global_inv scope:SCOPE_SE
	ds_load_2addr_b64 v[0:3], v113 offset1:81
	v_add_nc_u32_e32 v4, 0x400, v113
	v_add_nc_u32_e32 v8, 0x1000, v113
	v_mad_co_u64_u32 v[16:17], null, s6, v80, 0
	s_mov_b32 s2, 0x30abee4d
	s_mov_b32 s3, 0x3f543a27
	v_mad_co_u64_u32 v[38:39], null, s4, v114, 0
	s_wait_dscnt 0x0
	v_mul_f32_e32 v21, v96, v2
	v_mul_f32_e32 v19, v94, v0
	ds_load_2addr_b64 v[4:7], v4 offset0:34 offset1:142
	ds_load_2addr_b64 v[8:11], v8 offset0:28 offset1:109
	v_add_nc_u32_e32 v12, 0x800, v113
	v_mul_f32_e32 v20, v96, v3
	v_fma_f32 v26, v95, v3, -v21
	v_fma_f32 v19, v93, v1, -v19
	s_delay_alu instid0(VALU_DEP_2)
	v_cvt_f64_f32_e32 v[26:27], v26
	s_wait_dscnt 0x1
	v_mul_f32_e32 v23, v100, v6
	s_wait_dscnt 0x0
	v_mul_f32_e32 v25, v98, v8
	ds_load_2addr_b64 v[12:15], v12 offset0:95 offset1:176
	v_mul_f32_e32 v18, v94, v1
	v_fmac_f32_e32 v20, v95, v2
	v_cvt_f64_f32_e32 v[2:3], v19
	v_mul_f32_e32 v24, v98, v9
	v_mul_f32_e32 v22, v100, v7
	;; [unrolled: 1-line block ×4, first 2 shown]
	s_delay_alu instid0(VALU_DEP_2) | instskip(SKIP_1) | instid1(VALU_DEP_3)
	v_dual_mul_f32 v31, v88, v10 :: v_dual_fmac_f32 v32, v85, v4
	v_mul_f32_e32 v4, v86, v4
	v_fmac_f32_e32 v30, v87, v10
	s_delay_alu instid0(VALU_DEP_3) | instskip(NEXT) | instid1(VALU_DEP_4)
	v_fma_f32 v31, v87, v11, -v31
	v_cvt_f64_f32_e32 v[32:33], v32
	s_delay_alu instid0(VALU_DEP_4)
	v_fma_f32 v4, v85, v5, -v4
	s_wait_dscnt 0x0
	v_mul_f32_e32 v35, v90, v14
	v_mul_f32_e32 v29, v84, v12
	v_fmac_f32_e32 v18, v93, v0
	v_mul_f32_e32 v34, v90, v15
	v_cvt_f64_f32_e32 v[4:5], v4
	v_fma_f32 v35, v89, v15, -v35
	s_wait_alu 0xfffe
	v_mul_f64_e32 v[26:27], s[2:3], v[26:27]
	v_cvt_f64_f32_e32 v[0:1], v18
	v_fma_f32 v18, v99, v7, -v23
	v_fma_f32 v23, v97, v9, -v25
	v_fmac_f32_e32 v34, v89, v14
	s_delay_alu instid0(VALU_DEP_3) | instskip(NEXT) | instid1(VALU_DEP_2)
	v_cvt_f64_f32_e32 v[18:19], v18
	v_cvt_f64_f32_e32 v[14:15], v34
	v_mul_f64_e32 v[2:3], s[2:3], v[2:3]
	v_mul_f64_e32 v[32:33], s[2:3], v[32:33]
	;; [unrolled: 1-line block ×4, first 2 shown]
	v_mad_co_u64_u32 v[40:41], null, s7, v80, v[17:18]
	v_mul_f64_e32 v[18:19], s[2:3], v[18:19]
	v_dual_mov_b32 v17, v39 :: v_dual_fmac_f32 v24, v97, v8
	v_fmac_f32_e32 v22, v99, v6
	v_cvt_f64_f32_e32 v[6:7], v20
	v_mul_f64_e32 v[14:15], s[2:3], v[14:15]
	s_mul_u64 s[6:7], s[4:5], 0x10e
	v_cvt_f64_f32_e32 v[20:21], v24
	ds_load_b64 v[24:25], v113 offset:5616
	s_wait_alu 0xfffe
	s_lshl_b64 s[6:7], s[6:7], 3
	s_wait_dscnt 0x0
	v_mul_f32_e32 v36, v92, v25
	v_mul_f32_e32 v37, v92, v24
	v_cvt_f32_f64_e32 v0, v[0:1]
	v_cvt_f32_f64_e32 v1, v[2:3]
	s_delay_alu instid0(VALU_DEP_4) | instskip(NEXT) | instid1(VALU_DEP_4)
	v_fmac_f32_e32 v36, v91, v24
	v_fma_f32 v37, v91, v25, -v37
	v_cvt_f64_f32_e32 v[24:25], v35
	v_mad_co_u64_u32 v[41:42], null, s5, v114, v[17:18]
	v_mov_b32_e32 v17, v40
	v_cvt_f64_f32_e32 v[8:9], v22
	v_mul_f32_e32 v28, v84, v13
	v_cvt_f64_f32_e32 v[22:23], v23
	v_cvt_f64_f32_e32 v[34:35], v36
	;; [unrolled: 1-line block ×3, first 2 shown]
	s_delay_alu instid0(VALU_DEP_4)
	v_dual_mov_b32 v39, v41 :: v_dual_fmac_f32 v28, v83, v12
	v_fma_f32 v12, v83, v13, -v29
	v_mul_f64_e32 v[20:21], s[2:3], v[20:21]
	v_mul_f64_e32 v[6:7], s[2:3], v[6:7]
	v_lshlrev_b64_e32 v[16:17], 3, v[16:17]
	v_cvt_f64_f32_e32 v[10:11], v28
	v_cvt_f64_f32_e32 v[12:13], v12
	;; [unrolled: 1-line block ×4, first 2 shown]
	v_cvt_f32_f64_e32 v3, v[18:19]
	v_lshlrev_b64_e32 v[38:39], 3, v[38:39]
	v_add_co_u32 v16, s0, s8, v16
	s_wait_alu 0xf1ff
	v_add_co_ci_u32_e64 v17, s0, s9, v17, s0
	s_delay_alu instid0(VALU_DEP_2) | instskip(SKIP_1) | instid1(VALU_DEP_2)
	v_add_co_u32 v16, s0, v16, v38
	s_wait_alu 0xf1ff
	v_add_co_ci_u32_e64 v17, s0, v17, v39, s0
	global_store_b64 v[16:17], v[0:1], off
	v_mul_f64_e32 v[24:25], s[2:3], v[24:25]
	v_mul_f64_e32 v[8:9], s[2:3], v[8:9]
	;; [unrolled: 1-line block ×5, first 2 shown]
	v_cvt_f32_f64_e32 v18, v[20:21]
	v_cvt_f32_f64_e32 v6, v[6:7]
	;; [unrolled: 1-line block ×3, first 2 shown]
	v_mul_f64_e32 v[10:11], s[2:3], v[10:11]
	v_mul_f64_e32 v[12:13], s[2:3], v[12:13]
	;; [unrolled: 1-line block ×4, first 2 shown]
	v_cvt_f32_f64_e32 v20, v[32:33]
	v_cvt_f32_f64_e32 v21, v[4:5]
	;; [unrolled: 1-line block ×5, first 2 shown]
	s_wait_alu 0xfffe
	v_add_co_u32 v8, s0, v16, s6
	s_wait_alu 0xf1ff
	v_add_co_ci_u32_e64 v9, s0, s7, v17, s0
	s_movk_i32 s0, 0xfe35
	s_mov_b32 s1, -1
	v_cvt_f32_f64_e32 v19, v[22:23]
	s_wait_alu 0xfffe
	s_mul_u64 s[4:5], s[4:5], s[0:1]
	v_add_co_u32 v22, s0, v8, s6
	v_cvt_f32_f64_e32 v10, v[10:11]
	v_cvt_f32_f64_e32 v11, v[12:13]
	;; [unrolled: 1-line block ×4, first 2 shown]
	s_wait_alu 0xf1ff
	v_add_co_ci_u32_e64 v23, s0, s7, v9, s0
	v_cvt_f32_f64_e32 v14, v[34:35]
	v_cvt_f32_f64_e32 v15, v[36:37]
	s_wait_alu 0xfffe
	s_lshl_b64 s[4:5], s[4:5], 3
	s_wait_alu 0xfffe
	v_add_co_u32 v24, s0, v22, s4
	s_wait_alu 0xf1ff
	v_add_co_ci_u32_e64 v25, s0, s5, v23, s0
	s_delay_alu instid0(VALU_DEP_2) | instskip(SKIP_1) | instid1(VALU_DEP_2)
	v_add_co_u32 v26, s0, v24, s6
	s_wait_alu 0xf1ff
	v_add_co_ci_u32_e64 v27, s0, s7, v25, s0
	s_delay_alu instid0(VALU_DEP_2) | instskip(SKIP_1) | instid1(VALU_DEP_2)
	v_add_co_u32 v16, s0, v26, s6
	s_wait_alu 0xf1ff
	v_add_co_ci_u32_e64 v17, s0, s7, v27, s0
	global_store_b64 v[8:9], v[2:3], off
	v_add_co_u32 v2, s0, v16, s4
	s_wait_alu 0xf1ff
	v_add_co_ci_u32_e64 v3, s0, s5, v17, s0
	s_delay_alu instid0(VALU_DEP_2) | instskip(SKIP_1) | instid1(VALU_DEP_2)
	v_add_co_u32 v8, s0, v2, s6
	s_wait_alu 0xf1ff
	v_add_co_ci_u32_e64 v9, s0, s7, v3, s0
	global_store_b64 v[22:23], v[18:19], off
	v_add_co_u32 v0, s0, v8, s6
	s_wait_alu 0xf1ff
	v_add_co_ci_u32_e64 v1, s0, s7, v9, s0
	s_clause 0x1
	global_store_b64 v[24:25], v[6:7], off
	global_store_b64 v[26:27], v[10:11], off
	;; [unrolled: 1-line block ×6, first 2 shown]
	s_and_b32 exec_lo, exec_lo, vcc_lo
	s_cbranch_execz .LBB0_39
; %bb.38:
	s_clause 0x2
	global_load_b64 v[2:3], v[81:82], off offset:1944
	global_load_b64 v[4:5], v[81:82], off offset:4104
	global_load_b64 v[6:7], v[81:82], off offset:6264
	ds_load_b64 v[8:9], v113 offset:1944
	ds_load_b64 v[10:11], v113 offset:4104
	;; [unrolled: 1-line block ×3, first 2 shown]
	v_add_co_u32 v0, vcc_lo, v0, s4
	s_wait_alu 0xfffd
	v_add_co_ci_u32_e32 v1, vcc_lo, s5, v1, vcc_lo
	s_wait_loadcnt_dscnt 0x101
	v_dual_mul_f32 v14, v9, v3 :: v_dual_mul_f32 v15, v11, v5
	v_mul_f32_e32 v3, v8, v3
	s_wait_loadcnt_dscnt 0x0
	v_dual_mul_f32 v5, v10, v5 :: v_dual_mul_f32 v16, v13, v7
	v_mul_f32_e32 v7, v12, v7
	v_dual_fmac_f32 v14, v8, v2 :: v_dual_fmac_f32 v15, v10, v4
	v_fma_f32 v8, v2, v9, -v3
	s_delay_alu instid0(VALU_DEP_4)
	v_fma_f32 v9, v4, v11, -v5
	v_fmac_f32_e32 v16, v12, v6
	v_fma_f32 v12, v6, v13, -v7
	v_cvt_f64_f32_e32 v[2:3], v14
	v_cvt_f64_f32_e32 v[4:5], v8
	;; [unrolled: 1-line block ×6, first 2 shown]
	v_mul_f64_e32 v[2:3], s[2:3], v[2:3]
	v_mul_f64_e32 v[4:5], s[2:3], v[4:5]
	;; [unrolled: 1-line block ×6, first 2 shown]
	v_cvt_f32_f64_e32 v2, v[2:3]
	v_cvt_f32_f64_e32 v3, v[4:5]
	;; [unrolled: 1-line block ×6, first 2 shown]
	v_add_co_u32 v8, vcc_lo, v0, s6
	s_wait_alu 0xfffd
	v_add_co_ci_u32_e32 v9, vcc_lo, s7, v1, vcc_lo
	s_delay_alu instid0(VALU_DEP_2) | instskip(SKIP_1) | instid1(VALU_DEP_2)
	v_add_co_u32 v10, vcc_lo, v8, s6
	s_wait_alu 0xfffd
	v_add_co_ci_u32_e32 v11, vcc_lo, s7, v9, vcc_lo
	global_store_b64 v[0:1], v[2:3], off
	global_store_b64 v[8:9], v[4:5], off
	;; [unrolled: 1-line block ×3, first 2 shown]
.LBB0_39:
	s_nop 0
	s_sendmsg sendmsg(MSG_DEALLOC_VGPRS)
	s_endpgm
	.section	.rodata,"a",@progbits
	.p2align	6, 0x0
	.amdhsa_kernel bluestein_single_back_len810_dim1_sp_op_CI_CI
		.amdhsa_group_segment_fixed_size 6480
		.amdhsa_private_segment_fixed_size 0
		.amdhsa_kernarg_size 104
		.amdhsa_user_sgpr_count 2
		.amdhsa_user_sgpr_dispatch_ptr 0
		.amdhsa_user_sgpr_queue_ptr 0
		.amdhsa_user_sgpr_kernarg_segment_ptr 1
		.amdhsa_user_sgpr_dispatch_id 0
		.amdhsa_user_sgpr_private_segment_size 0
		.amdhsa_wavefront_size32 1
		.amdhsa_uses_dynamic_stack 0
		.amdhsa_enable_private_segment 0
		.amdhsa_system_sgpr_workgroup_id_x 1
		.amdhsa_system_sgpr_workgroup_id_y 0
		.amdhsa_system_sgpr_workgroup_id_z 0
		.amdhsa_system_sgpr_workgroup_info 0
		.amdhsa_system_vgpr_workitem_id 0
		.amdhsa_next_free_vgpr 147
		.amdhsa_next_free_sgpr 18
		.amdhsa_reserve_vcc 1
		.amdhsa_float_round_mode_32 0
		.amdhsa_float_round_mode_16_64 0
		.amdhsa_float_denorm_mode_32 3
		.amdhsa_float_denorm_mode_16_64 3
		.amdhsa_fp16_overflow 0
		.amdhsa_workgroup_processor_mode 1
		.amdhsa_memory_ordered 1
		.amdhsa_forward_progress 0
		.amdhsa_round_robin_scheduling 0
		.amdhsa_exception_fp_ieee_invalid_op 0
		.amdhsa_exception_fp_denorm_src 0
		.amdhsa_exception_fp_ieee_div_zero 0
		.amdhsa_exception_fp_ieee_overflow 0
		.amdhsa_exception_fp_ieee_underflow 0
		.amdhsa_exception_fp_ieee_inexact 0
		.amdhsa_exception_int_div_zero 0
	.end_amdhsa_kernel
	.text
.Lfunc_end0:
	.size	bluestein_single_back_len810_dim1_sp_op_CI_CI, .Lfunc_end0-bluestein_single_back_len810_dim1_sp_op_CI_CI
                                        ; -- End function
	.section	.AMDGPU.csdata,"",@progbits
; Kernel info:
; codeLenInByte = 12700
; NumSgprs: 20
; NumVgprs: 147
; ScratchSize: 0
; MemoryBound: 0
; FloatMode: 240
; IeeeMode: 1
; LDSByteSize: 6480 bytes/workgroup (compile time only)
; SGPRBlocks: 2
; VGPRBlocks: 18
; NumSGPRsForWavesPerEU: 20
; NumVGPRsForWavesPerEU: 147
; Occupancy: 9
; WaveLimiterHint : 1
; COMPUTE_PGM_RSRC2:SCRATCH_EN: 0
; COMPUTE_PGM_RSRC2:USER_SGPR: 2
; COMPUTE_PGM_RSRC2:TRAP_HANDLER: 0
; COMPUTE_PGM_RSRC2:TGID_X_EN: 1
; COMPUTE_PGM_RSRC2:TGID_Y_EN: 0
; COMPUTE_PGM_RSRC2:TGID_Z_EN: 0
; COMPUTE_PGM_RSRC2:TIDIG_COMP_CNT: 0
	.text
	.p2alignl 7, 3214868480
	.fill 96, 4, 3214868480
	.type	__hip_cuid_16b162a67ef33221,@object ; @__hip_cuid_16b162a67ef33221
	.section	.bss,"aw",@nobits
	.globl	__hip_cuid_16b162a67ef33221
__hip_cuid_16b162a67ef33221:
	.byte	0                               ; 0x0
	.size	__hip_cuid_16b162a67ef33221, 1

	.ident	"AMD clang version 19.0.0git (https://github.com/RadeonOpenCompute/llvm-project roc-6.4.0 25133 c7fe45cf4b819c5991fe208aaa96edf142730f1d)"
	.section	".note.GNU-stack","",@progbits
	.addrsig
	.addrsig_sym __hip_cuid_16b162a67ef33221
	.amdgpu_metadata
---
amdhsa.kernels:
  - .args:
      - .actual_access:  read_only
        .address_space:  global
        .offset:         0
        .size:           8
        .value_kind:     global_buffer
      - .actual_access:  read_only
        .address_space:  global
        .offset:         8
        .size:           8
        .value_kind:     global_buffer
      - .actual_access:  read_only
        .address_space:  global
        .offset:         16
        .size:           8
        .value_kind:     global_buffer
      - .actual_access:  read_only
        .address_space:  global
        .offset:         24
        .size:           8
        .value_kind:     global_buffer
      - .actual_access:  read_only
        .address_space:  global
        .offset:         32
        .size:           8
        .value_kind:     global_buffer
      - .offset:         40
        .size:           8
        .value_kind:     by_value
      - .address_space:  global
        .offset:         48
        .size:           8
        .value_kind:     global_buffer
      - .address_space:  global
        .offset:         56
        .size:           8
        .value_kind:     global_buffer
      - .address_space:  global
        .offset:         64
        .size:           8
        .value_kind:     global_buffer
      - .address_space:  global
        .offset:         72
        .size:           8
        .value_kind:     global_buffer
      - .offset:         80
        .size:           4
        .value_kind:     by_value
      - .address_space:  global
        .offset:         88
        .size:           8
        .value_kind:     global_buffer
      - .address_space:  global
        .offset:         96
        .size:           8
        .value_kind:     global_buffer
    .group_segment_fixed_size: 6480
    .kernarg_segment_align: 8
    .kernarg_segment_size: 104
    .language:       OpenCL C
    .language_version:
      - 2
      - 0
    .max_flat_workgroup_size: 81
    .name:           bluestein_single_back_len810_dim1_sp_op_CI_CI
    .private_segment_fixed_size: 0
    .sgpr_count:     20
    .sgpr_spill_count: 0
    .symbol:         bluestein_single_back_len810_dim1_sp_op_CI_CI.kd
    .uniform_work_group_size: 1
    .uses_dynamic_stack: false
    .vgpr_count:     147
    .vgpr_spill_count: 0
    .wavefront_size: 32
    .workgroup_processor_mode: 1
amdhsa.target:   amdgcn-amd-amdhsa--gfx1201
amdhsa.version:
  - 1
  - 2
...

	.end_amdgpu_metadata
